;; amdgpu-corpus repo=pytorch/pytorch kind=compiled arch=gfx906 opt=O3
	.amdgcn_target "amdgcn-amd-amdhsa--gfx906"
	.amdhsa_code_object_version 6
	.section	.text._ZN7rocprim17ROCPRIM_304000_NS6detail28radix_sort_block_sort_kernelINS1_36wrapped_radix_sort_block_sort_configINS0_13kernel_configILj256ELj4ELj4294967295EEEjN2at4cuda3cub6detail10OpaqueTypeILi8EEEEELb1EPKjPjPKSB_PSB_NS0_19identity_decomposerEEEvT1_T2_T3_T4_jT5_jj,"axG",@progbits,_ZN7rocprim17ROCPRIM_304000_NS6detail28radix_sort_block_sort_kernelINS1_36wrapped_radix_sort_block_sort_configINS0_13kernel_configILj256ELj4ELj4294967295EEEjN2at4cuda3cub6detail10OpaqueTypeILi8EEEEELb1EPKjPjPKSB_PSB_NS0_19identity_decomposerEEEvT1_T2_T3_T4_jT5_jj,comdat
	.protected	_ZN7rocprim17ROCPRIM_304000_NS6detail28radix_sort_block_sort_kernelINS1_36wrapped_radix_sort_block_sort_configINS0_13kernel_configILj256ELj4ELj4294967295EEEjN2at4cuda3cub6detail10OpaqueTypeILi8EEEEELb1EPKjPjPKSB_PSB_NS0_19identity_decomposerEEEvT1_T2_T3_T4_jT5_jj ; -- Begin function _ZN7rocprim17ROCPRIM_304000_NS6detail28radix_sort_block_sort_kernelINS1_36wrapped_radix_sort_block_sort_configINS0_13kernel_configILj256ELj4ELj4294967295EEEjN2at4cuda3cub6detail10OpaqueTypeILi8EEEEELb1EPKjPjPKSB_PSB_NS0_19identity_decomposerEEEvT1_T2_T3_T4_jT5_jj
	.globl	_ZN7rocprim17ROCPRIM_304000_NS6detail28radix_sort_block_sort_kernelINS1_36wrapped_radix_sort_block_sort_configINS0_13kernel_configILj256ELj4ELj4294967295EEEjN2at4cuda3cub6detail10OpaqueTypeILi8EEEEELb1EPKjPjPKSB_PSB_NS0_19identity_decomposerEEEvT1_T2_T3_T4_jT5_jj
	.p2align	8
	.type	_ZN7rocprim17ROCPRIM_304000_NS6detail28radix_sort_block_sort_kernelINS1_36wrapped_radix_sort_block_sort_configINS0_13kernel_configILj256ELj4ELj4294967295EEEjN2at4cuda3cub6detail10OpaqueTypeILi8EEEEELb1EPKjPjPKSB_PSB_NS0_19identity_decomposerEEEvT1_T2_T3_T4_jT5_jj,@function
_ZN7rocprim17ROCPRIM_304000_NS6detail28radix_sort_block_sort_kernelINS1_36wrapped_radix_sort_block_sort_configINS0_13kernel_configILj256ELj4ELj4294967295EEEjN2at4cuda3cub6detail10OpaqueTypeILi8EEEEELb1EPKjPjPKSB_PSB_NS0_19identity_decomposerEEEvT1_T2_T3_T4_jT5_jj: ; @_ZN7rocprim17ROCPRIM_304000_NS6detail28radix_sort_block_sort_kernelINS1_36wrapped_radix_sort_block_sort_configINS0_13kernel_configILj256ELj4ELj4294967295EEEjN2at4cuda3cub6detail10OpaqueTypeILi8EEEEELb1EPKjPjPKSB_PSB_NS0_19identity_decomposerEEEvT1_T2_T3_T4_jT5_jj
; %bb.0:
	s_load_dword s2, s[4:5], 0x20
	s_load_dwordx8 s[36:43], s[4:5], 0x0
	s_lshl_b32 s28, s6, 10
	s_mov_b32 s29, 0
	v_mbcnt_lo_u32_b32 v3, -1, 0
	s_waitcnt lgkmcnt(0)
	s_lshr_b32 s0, s2, 10
	s_cmp_lg_u32 s6, s0
	s_cselect_b64 s[30:31], -1, 0
	s_lshl_b64 s[34:35], s[28:29], 2
	s_add_u32 s1, s36, s34
	v_mbcnt_hi_u32_b32 v9, -1, v3
	s_addc_u32 s3, s37, s35
	v_lshlrev_b32_e32 v27, 2, v0
	v_lshlrev_b32_e32 v3, 2, v9
	v_and_b32_e32 v10, 0x300, v27
	v_mov_b32_e32 v4, s3
	v_add_co_u32_e32 v3, vcc, s1, v3
	v_addc_co_u32_e32 v4, vcc, 0, v4, vcc
	v_lshlrev_b32_e32 v5, 2, v10
	v_add_co_u32_e32 v7, vcc, v3, v5
	s_cmp_eq_u32 s6, s0
	v_addc_co_u32_e32 v8, vcc, 0, v4, vcc
	v_lshlrev_b32_e32 v15, 3, v9
	v_lshlrev_b32_e32 v14, 3, v10
	v_add_u32_e32 v11, v9, v10
	s_cbranch_scc1 .LBB0_2
; %bb.1:
	s_lshl_b64 s[0:1], s[28:29], 3
	s_add_u32 s0, s40, s0
	s_addc_u32 s1, s41, s1
	v_mov_b32_e32 v12, s1
	v_add_co_u32_e32 v13, vcc, s0, v15
	v_addc_co_u32_e32 v16, vcc, 0, v12, vcc
	v_add_co_u32_e32 v12, vcc, v13, v14
	v_addc_co_u32_e32 v13, vcc, 0, v16, vcc
	global_load_dword v3, v[7:8], off
	global_load_dword v4, v[7:8], off offset:256
	global_load_dword v5, v[7:8], off offset:512
	;; [unrolled: 1-line block ×3, first 2 shown]
	global_load_dwordx2 v[19:20], v[12:13], off
	global_load_dwordx2 v[21:22], v[12:13], off offset:512
	global_load_dwordx2 v[23:24], v[12:13], off offset:1024
	global_load_dwordx2 v[25:26], v[12:13], off offset:1536
	v_add_u32_e32 v16, v9, v10
	v_add_u32_e32 v10, 64, v16
	;; [unrolled: 1-line block ×4, first 2 shown]
	s_sub_i32 s33, s2, s28
	s_cbranch_execz .LBB0_3
	s_branch .LBB0_17
.LBB0_2:
                                        ; implicit-def: $vgpr3_vgpr4_vgpr5_vgpr6
                                        ; implicit-def: $vgpr19_vgpr20
                                        ; implicit-def: $vgpr21_vgpr22
                                        ; implicit-def: $vgpr23_vgpr24
                                        ; implicit-def: $vgpr25_vgpr26
                                        ; implicit-def: $vgpr16
                                        ; implicit-def: $vgpr10
                                        ; implicit-def: $vgpr12
                                        ; implicit-def: $vgpr13
	s_sub_i32 s33, s2, s28
.LBB0_3:
	s_waitcnt vmcnt(7)
	v_mov_b32_e32 v3, 0
	v_cmp_gt_u32_e32 vcc, s33, v11
	s_waitcnt vmcnt(6)
	v_mov_b32_e32 v4, v3
	s_waitcnt vmcnt(5)
	v_mov_b32_e32 v5, v3
	;; [unrolled: 2-line block ×3, first 2 shown]
	s_and_saveexec_b64 s[0:1], vcc
	s_cbranch_execz .LBB0_5
; %bb.4:
	global_load_dword v16, v[7:8], off
	v_mov_b32_e32 v17, v3
	v_mov_b32_e32 v18, v3
	s_waitcnt vmcnt(4)
	v_mov_b32_e32 v19, v3
	s_waitcnt vmcnt(0)
	v_mov_b32_e32 v3, v16
	v_mov_b32_e32 v4, v17
	;; [unrolled: 1-line block ×4, first 2 shown]
.LBB0_5:
	s_or_b64 exec, exec, s[0:1]
	v_add_u32_e32 v10, 64, v11
	v_cmp_gt_u32_e64 s[0:1], s33, v10
	s_and_saveexec_b64 s[2:3], s[0:1]
	s_cbranch_execz .LBB0_7
; %bb.6:
	global_load_dword v4, v[7:8], off offset:256
.LBB0_7:
	s_or_b64 exec, exec, s[2:3]
	v_add_u32_e32 v12, 0x80, v11
	v_cmp_gt_u32_e64 s[2:3], s33, v12
	s_and_saveexec_b64 s[6:7], s[2:3]
	s_cbranch_execz .LBB0_9
; %bb.8:
	global_load_dword v5, v[7:8], off offset:512
.LBB0_9:
	;; [unrolled: 8-line block ×3, first 2 shown]
	s_or_b64 exec, exec, s[8:9]
	s_lshl_b64 s[8:9], s[28:29], 3
	s_add_u32 s8, s40, s8
	s_addc_u32 s9, s41, s9
	v_mov_b32_e32 v7, s9
	v_add_co_u32_e64 v8, s[8:9], s8, v15
	v_addc_co_u32_e64 v15, s[8:9], 0, v7, s[8:9]
	v_add_co_u32_e64 v7, s[8:9], v8, v14
	v_addc_co_u32_e64 v8, s[8:9], 0, v15, s[8:9]
                                        ; implicit-def: $vgpr19_vgpr20
	s_and_saveexec_b64 s[8:9], vcc
	s_cbranch_execnz .LBB0_54
; %bb.12:
	s_or_b64 exec, exec, s[8:9]
                                        ; implicit-def: $vgpr21_vgpr22
	s_and_saveexec_b64 s[8:9], s[0:1]
	s_cbranch_execnz .LBB0_55
.LBB0_13:
	s_or_b64 exec, exec, s[8:9]
                                        ; implicit-def: $vgpr23_vgpr24
	s_and_saveexec_b64 s[0:1], s[2:3]
	s_cbranch_execnz .LBB0_56
.LBB0_14:
	s_or_b64 exec, exec, s[0:1]
                                        ; implicit-def: $vgpr25_vgpr26
	s_and_saveexec_b64 s[0:1], s[6:7]
	s_cbranch_execz .LBB0_16
.LBB0_15:
	global_load_dwordx2 v[25:26], v[7:8], off offset:1536
.LBB0_16:
	s_or_b64 exec, exec, s[0:1]
	v_mov_b32_e32 v16, v11
.LBB0_17:
	s_load_dwordx2 s[36:37], s[4:5], 0x28
	s_load_dword s0, s[4:5], 0x3c
	s_mov_b32 s26, 0
	s_mov_b32 s44, s26
	v_lshlrev_b32_e32 v34, 2, v16
	v_lshlrev_b32_e32 v35, 2, v10
	s_waitcnt lgkmcnt(0)
	s_lshr_b32 s1, s0, 16
	s_and_b32 s0, s0, 0xffff
	v_mad_u32_u24 v1, v2, s1, v1
	v_mad_u64_u32 v[7:8], s[0:1], v1, s0, v[0:1]
	s_waitcnt vmcnt(0)
	v_not_b32_e32 v1, v5
	v_not_b32_e32 v2, v6
	v_lshrrev_b32_e32 v5, 4, v7
	v_and_b32_e32 v29, 0xffffffc, v5
	v_and_b32_e32 v5, 15, v9
	v_cmp_eq_u32_e64 s[0:1], 0, v5
	v_cmp_lt_u32_e64 s[2:3], 1, v5
	v_cmp_lt_u32_e64 s[4:5], 3, v5
	;; [unrolled: 1-line block ×3, first 2 shown]
	v_and_b32_e32 v5, 16, v9
	v_cmp_eq_u32_e64 s[8:9], 0, v5
	v_or_b32_e32 v5, 63, v0
	v_cmp_eq_u32_e64 s[12:13], v0, v5
	v_subrev_co_u32_e64 v5, s[18:19], 1, v9
	v_and_b32_e32 v6, 64, v9
	v_cmp_lt_i32_e32 vcc, v5, v6
	v_cndmask_b32_e32 v5, v5, v9, vcc
	v_lshlrev_b32_e32 v31, 2, v5
	v_lshrrev_b32_e32 v5, 4, v0
	v_and_b32_e32 v32, 12, v5
	v_and_b32_e32 v5, 3, v9
	v_cmp_eq_u32_e64 s[22:23], 0, v5
	v_cmp_lt_u32_e64 s[24:25], 1, v5
	v_lshlrev_b32_e32 v36, 2, v12
	v_lshlrev_b32_e32 v37, 2, v13
	s_mov_b32 s27, s26
	s_mov_b32 s45, s26
	v_mov_b32_e32 v5, s26
	v_mov_b32_e32 v7, s44
	v_not_b32_e32 v3, v3
	v_not_b32_e32 v4, v4
	s_add_i32 s40, s37, s36
	v_lshlrev_b32_e32 v28, 2, v27
	v_cmp_lt_u32_e64 s[10:11], 31, v9
	v_cmp_gt_u32_e64 s[14:15], 4, v0
	v_cmp_lt_u32_e64 s[16:17], 63, v0
	v_cmp_eq_u32_e64 s[20:21], 0, v0
	v_mul_i32_i24_e32 v30, -12, v0
	v_add_u32_e32 v33, -4, v32
	v_mov_b32_e32 v6, s27
	v_mov_b32_e32 v8, s45
	;; [unrolled: 1-line block ×3, first 2 shown]
	v_add_u32_e32 v38, v34, v34
	v_add_u32_e32 v39, v35, v35
	;; [unrolled: 1-line block ×4, first 2 shown]
	s_branch .LBB0_19
.LBB0_18:                               ;   in Loop: Header=BB0_19 Depth=1
	s_andn2_b64 vcc, exec, s[26:27]
	s_mov_b32 s37, s41
	s_cbranch_vccz .LBB0_35
.LBB0_19:                               ; =>This Inner Loop Header: Depth=1
	s_min_u32 s26, s37, 8
	v_mov_b32_e32 v45, v3
	s_lshl_b32 s26, -1, s26
	v_mov_b32_e32 v43, v1
	s_not_b32 s41, s26
	v_lshrrev_b32_e32 v1, s36, v45
	v_and_b32_e32 v1, s41, v1
	v_mov_b32_e32 v42, v2
	v_and_b32_e32 v2, 1, v1
	v_mov_b32_e32 v44, v4
	v_add_co_u32_e32 v4, vcc, -1, v2
	v_addc_co_u32_e64 v10, s[26:27], 0, -1, vcc
	v_cmp_ne_u32_e32 vcc, 0, v2
	v_xor_b32_e32 v2, vcc_hi, v10
	v_lshlrev_b32_e32 v10, 30, v1
	v_xor_b32_e32 v4, vcc_lo, v4
	v_cmp_gt_i64_e32 vcc, 0, v[9:10]
	v_not_b32_e32 v10, v10
	v_mov_b32_e32 v17, v19
	v_ashrrev_i32_e32 v10, 31, v10
	v_mov_b32_e32 v18, v20
	v_and_b32_e32 v4, exec_lo, v4
	v_xor_b32_e32 v19, vcc_hi, v10
	v_xor_b32_e32 v10, vcc_lo, v10
	v_and_b32_e32 v4, v4, v10
	v_lshlrev_b32_e32 v10, 29, v1
	v_cmp_gt_i64_e32 vcc, 0, v[9:10]
	v_not_b32_e32 v10, v10
	v_and_b32_e32 v2, exec_hi, v2
	v_ashrrev_i32_e32 v10, 31, v10
	v_and_b32_e32 v2, v2, v19
	v_xor_b32_e32 v19, vcc_hi, v10
	v_xor_b32_e32 v10, vcc_lo, v10
	v_and_b32_e32 v4, v4, v10
	v_lshlrev_b32_e32 v10, 28, v1
	v_cmp_gt_i64_e32 vcc, 0, v[9:10]
	v_not_b32_e32 v10, v10
	v_ashrrev_i32_e32 v10, 31, v10
	v_and_b32_e32 v2, v2, v19
	v_xor_b32_e32 v19, vcc_hi, v10
	v_xor_b32_e32 v10, vcc_lo, v10
	v_and_b32_e32 v4, v4, v10
	v_lshlrev_b32_e32 v10, 27, v1
	v_cmp_gt_i64_e32 vcc, 0, v[9:10]
	v_not_b32_e32 v10, v10
	;; [unrolled: 8-line block ×4, first 2 shown]
	v_ashrrev_i32_e32 v10, 31, v10
	v_and_b32_e32 v2, v2, v19
	v_xor_b32_e32 v19, vcc_hi, v10
	v_xor_b32_e32 v10, vcc_lo, v10
	v_and_b32_e32 v4, v4, v10
	v_lshlrev_b32_e32 v10, 24, v1
	v_lshlrev_b32_e32 v3, 4, v1
	v_cmp_gt_i64_e32 vcc, 0, v[9:10]
	v_not_b32_e32 v1, v10
	v_ashrrev_i32_e32 v1, 31, v1
	v_xor_b32_e32 v10, vcc_hi, v1
	v_xor_b32_e32 v1, vcc_lo, v1
	v_and_b32_e32 v2, v2, v19
	v_and_b32_e32 v1, v4, v1
	;; [unrolled: 1-line block ×3, first 2 shown]
	v_mbcnt_lo_u32_b32 v4, v1, 0
	v_mbcnt_hi_u32_b32 v19, v2, v4
	v_cmp_ne_u64_e32 vcc, 0, v[1:2]
	v_mov_b32_e32 v15, v21
	v_mov_b32_e32 v13, v23
	;; [unrolled: 1-line block ×3, first 2 shown]
	v_cmp_eq_u32_e64 s[26:27], 0, v19
	v_mov_b32_e32 v16, v22
	v_mov_b32_e32 v14, v24
	;; [unrolled: 1-line block ×3, first 2 shown]
	s_and_b64 s[44:45], vcc, s[26:27]
	v_add_u32_e32 v20, v29, v3
	ds_write2_b64 v28, v[5:6], v[7:8] offset0:2 offset1:3
	s_waitcnt lgkmcnt(0)
	s_barrier
	; wave barrier
	s_and_saveexec_b64 s[26:27], s[44:45]
; %bb.20:                               ;   in Loop: Header=BB0_19 Depth=1
	v_bcnt_u32_b32 v1, v1, 0
	v_bcnt_u32_b32 v1, v2, v1
	ds_write_b32 v20, v1 offset:16
; %bb.21:                               ;   in Loop: Header=BB0_19 Depth=1
	s_or_b64 exec, exec, s[26:27]
	v_lshrrev_b32_e32 v1, s36, v44
	v_and_b32_e32 v1, s41, v1
	v_lshlrev_b32_e32 v2, 4, v1
	v_add_u32_e32 v22, v29, v2
	v_and_b32_e32 v2, 1, v1
	v_add_co_u32_e32 v3, vcc, -1, v2
	v_addc_co_u32_e64 v4, s[26:27], 0, -1, vcc
	v_cmp_ne_u32_e32 vcc, 0, v2
	v_lshlrev_b32_e32 v10, 30, v1
	v_xor_b32_e32 v2, vcc_hi, v4
	v_xor_b32_e32 v3, vcc_lo, v3
	v_cmp_gt_i64_e32 vcc, 0, v[9:10]
	v_not_b32_e32 v4, v10
	v_ashrrev_i32_e32 v4, 31, v4
	v_and_b32_e32 v2, exec_hi, v2
	v_xor_b32_e32 v10, vcc_hi, v4
	v_and_b32_e32 v3, exec_lo, v3
	v_xor_b32_e32 v4, vcc_lo, v4
	v_and_b32_e32 v2, v2, v10
	v_lshlrev_b32_e32 v10, 29, v1
	v_and_b32_e32 v3, v3, v4
	v_cmp_gt_i64_e32 vcc, 0, v[9:10]
	v_not_b32_e32 v4, v10
	v_ashrrev_i32_e32 v4, 31, v4
	v_xor_b32_e32 v10, vcc_hi, v4
	v_xor_b32_e32 v4, vcc_lo, v4
	v_and_b32_e32 v2, v2, v10
	v_lshlrev_b32_e32 v10, 28, v1
	v_and_b32_e32 v3, v3, v4
	v_cmp_gt_i64_e32 vcc, 0, v[9:10]
	v_not_b32_e32 v4, v10
	v_ashrrev_i32_e32 v4, 31, v4
	v_xor_b32_e32 v10, vcc_hi, v4
	;; [unrolled: 8-line block ×5, first 2 shown]
	v_and_b32_e32 v2, v2, v10
	v_lshlrev_b32_e32 v10, 24, v1
	v_xor_b32_e32 v4, vcc_lo, v4
	v_cmp_gt_i64_e32 vcc, 0, v[9:10]
	v_not_b32_e32 v1, v10
	v_ashrrev_i32_e32 v1, 31, v1
	v_and_b32_e32 v3, v3, v4
	v_xor_b32_e32 v4, vcc_hi, v1
	v_xor_b32_e32 v1, vcc_lo, v1
	; wave barrier
	ds_read_b32 v21, v22 offset:16
	v_and_b32_e32 v1, v3, v1
	v_and_b32_e32 v2, v2, v4
	v_mbcnt_lo_u32_b32 v3, v1, 0
	v_mbcnt_hi_u32_b32 v23, v2, v3
	v_cmp_ne_u64_e32 vcc, 0, v[1:2]
	v_cmp_eq_u32_e64 s[26:27], 0, v23
	s_and_b64 s[44:45], vcc, s[26:27]
	; wave barrier
	s_and_saveexec_b64 s[26:27], s[44:45]
	s_cbranch_execz .LBB0_23
; %bb.22:                               ;   in Loop: Header=BB0_19 Depth=1
	v_bcnt_u32_b32 v1, v1, 0
	v_bcnt_u32_b32 v1, v2, v1
	s_waitcnt lgkmcnt(0)
	v_add_u32_e32 v1, v21, v1
	ds_write_b32 v22, v1 offset:16
.LBB0_23:                               ;   in Loop: Header=BB0_19 Depth=1
	s_or_b64 exec, exec, s[26:27]
	v_lshrrev_b32_e32 v1, s36, v43
	v_and_b32_e32 v1, s41, v1
	v_lshlrev_b32_e32 v2, 4, v1
	v_add_u32_e32 v25, v29, v2
	v_and_b32_e32 v2, 1, v1
	v_add_co_u32_e32 v3, vcc, -1, v2
	v_addc_co_u32_e64 v4, s[26:27], 0, -1, vcc
	v_cmp_ne_u32_e32 vcc, 0, v2
	v_lshlrev_b32_e32 v10, 30, v1
	v_xor_b32_e32 v2, vcc_hi, v4
	v_xor_b32_e32 v3, vcc_lo, v3
	v_cmp_gt_i64_e32 vcc, 0, v[9:10]
	v_not_b32_e32 v4, v10
	v_ashrrev_i32_e32 v4, 31, v4
	v_and_b32_e32 v2, exec_hi, v2
	v_xor_b32_e32 v10, vcc_hi, v4
	v_and_b32_e32 v3, exec_lo, v3
	v_xor_b32_e32 v4, vcc_lo, v4
	v_and_b32_e32 v2, v2, v10
	v_lshlrev_b32_e32 v10, 29, v1
	v_and_b32_e32 v3, v3, v4
	v_cmp_gt_i64_e32 vcc, 0, v[9:10]
	v_not_b32_e32 v4, v10
	v_ashrrev_i32_e32 v4, 31, v4
	v_xor_b32_e32 v10, vcc_hi, v4
	v_xor_b32_e32 v4, vcc_lo, v4
	v_and_b32_e32 v2, v2, v10
	v_lshlrev_b32_e32 v10, 28, v1
	v_and_b32_e32 v3, v3, v4
	v_cmp_gt_i64_e32 vcc, 0, v[9:10]
	v_not_b32_e32 v4, v10
	v_ashrrev_i32_e32 v4, 31, v4
	v_xor_b32_e32 v10, vcc_hi, v4
	;; [unrolled: 8-line block ×5, first 2 shown]
	v_and_b32_e32 v2, v2, v10
	v_lshlrev_b32_e32 v10, 24, v1
	v_xor_b32_e32 v4, vcc_lo, v4
	v_cmp_gt_i64_e32 vcc, 0, v[9:10]
	v_not_b32_e32 v1, v10
	v_ashrrev_i32_e32 v1, 31, v1
	v_and_b32_e32 v3, v3, v4
	v_xor_b32_e32 v4, vcc_hi, v1
	v_xor_b32_e32 v1, vcc_lo, v1
	; wave barrier
	ds_read_b32 v24, v25 offset:16
	v_and_b32_e32 v1, v3, v1
	v_and_b32_e32 v2, v2, v4
	v_mbcnt_lo_u32_b32 v3, v1, 0
	v_mbcnt_hi_u32_b32 v26, v2, v3
	v_cmp_ne_u64_e32 vcc, 0, v[1:2]
	v_cmp_eq_u32_e64 s[26:27], 0, v26
	s_and_b64 s[44:45], vcc, s[26:27]
	; wave barrier
	s_and_saveexec_b64 s[26:27], s[44:45]
	s_cbranch_execz .LBB0_25
; %bb.24:                               ;   in Loop: Header=BB0_19 Depth=1
	v_bcnt_u32_b32 v1, v1, 0
	v_bcnt_u32_b32 v1, v2, v1
	s_waitcnt lgkmcnt(0)
	v_add_u32_e32 v1, v24, v1
	ds_write_b32 v25, v1 offset:16
.LBB0_25:                               ;   in Loop: Header=BB0_19 Depth=1
	s_or_b64 exec, exec, s[26:27]
	v_lshrrev_b32_e32 v1, s36, v42
	v_and_b32_e32 v1, s41, v1
	v_lshlrev_b32_e32 v2, 4, v1
	v_add_u32_e32 v47, v29, v2
	v_and_b32_e32 v2, 1, v1
	v_add_co_u32_e32 v3, vcc, -1, v2
	v_addc_co_u32_e64 v4, s[26:27], 0, -1, vcc
	v_cmp_ne_u32_e32 vcc, 0, v2
	v_lshlrev_b32_e32 v10, 30, v1
	v_xor_b32_e32 v2, vcc_hi, v4
	v_xor_b32_e32 v3, vcc_lo, v3
	v_cmp_gt_i64_e32 vcc, 0, v[9:10]
	v_not_b32_e32 v4, v10
	v_ashrrev_i32_e32 v4, 31, v4
	v_and_b32_e32 v2, exec_hi, v2
	v_xor_b32_e32 v10, vcc_hi, v4
	v_and_b32_e32 v3, exec_lo, v3
	v_xor_b32_e32 v4, vcc_lo, v4
	v_and_b32_e32 v2, v2, v10
	v_lshlrev_b32_e32 v10, 29, v1
	v_and_b32_e32 v3, v3, v4
	v_cmp_gt_i64_e32 vcc, 0, v[9:10]
	v_not_b32_e32 v4, v10
	v_ashrrev_i32_e32 v4, 31, v4
	v_xor_b32_e32 v10, vcc_hi, v4
	v_xor_b32_e32 v4, vcc_lo, v4
	v_and_b32_e32 v2, v2, v10
	v_lshlrev_b32_e32 v10, 28, v1
	v_and_b32_e32 v3, v3, v4
	v_cmp_gt_i64_e32 vcc, 0, v[9:10]
	v_not_b32_e32 v4, v10
	v_ashrrev_i32_e32 v4, 31, v4
	v_xor_b32_e32 v10, vcc_hi, v4
	;; [unrolled: 8-line block ×5, first 2 shown]
	v_and_b32_e32 v2, v2, v10
	v_lshlrev_b32_e32 v10, 24, v1
	v_xor_b32_e32 v4, vcc_lo, v4
	v_cmp_gt_i64_e32 vcc, 0, v[9:10]
	v_not_b32_e32 v1, v10
	v_ashrrev_i32_e32 v1, 31, v1
	v_and_b32_e32 v3, v3, v4
	v_xor_b32_e32 v4, vcc_hi, v1
	v_xor_b32_e32 v1, vcc_lo, v1
	; wave barrier
	ds_read_b32 v46, v47 offset:16
	v_and_b32_e32 v1, v3, v1
	v_and_b32_e32 v2, v2, v4
	v_mbcnt_lo_u32_b32 v3, v1, 0
	v_mbcnt_hi_u32_b32 v10, v2, v3
	v_cmp_ne_u64_e32 vcc, 0, v[1:2]
	v_cmp_eq_u32_e64 s[26:27], 0, v10
	s_and_b64 s[44:45], vcc, s[26:27]
	; wave barrier
	s_and_saveexec_b64 s[26:27], s[44:45]
	s_cbranch_execz .LBB0_27
; %bb.26:                               ;   in Loop: Header=BB0_19 Depth=1
	v_bcnt_u32_b32 v1, v1, 0
	v_bcnt_u32_b32 v1, v2, v1
	s_waitcnt lgkmcnt(0)
	v_add_u32_e32 v1, v46, v1
	ds_write_b32 v47, v1 offset:16
.LBB0_27:                               ;   in Loop: Header=BB0_19 Depth=1
	s_or_b64 exec, exec, s[26:27]
	; wave barrier
	s_waitcnt lgkmcnt(0)
	s_barrier
	ds_read2_b64 v[1:4], v28 offset0:2 offset1:3
	s_waitcnt lgkmcnt(0)
	v_add_u32_e32 v48, v2, v1
	v_add3_u32 v4, v48, v3, v4
	s_nop 1
	v_mov_b32_dpp v48, v4 row_shr:1 row_mask:0xf bank_mask:0xf
	v_cndmask_b32_e64 v48, v48, 0, s[0:1]
	v_add_u32_e32 v4, v48, v4
	s_nop 1
	v_mov_b32_dpp v48, v4 row_shr:2 row_mask:0xf bank_mask:0xf
	v_cndmask_b32_e64 v48, 0, v48, s[2:3]
	v_add_u32_e32 v4, v4, v48
	;; [unrolled: 4-line block ×4, first 2 shown]
	s_nop 1
	v_mov_b32_dpp v48, v4 row_bcast:15 row_mask:0xf bank_mask:0xf
	v_cndmask_b32_e64 v48, v48, 0, s[8:9]
	v_add_u32_e32 v4, v4, v48
	s_nop 1
	v_mov_b32_dpp v48, v4 row_bcast:31 row_mask:0xf bank_mask:0xf
	v_cndmask_b32_e64 v48, 0, v48, s[10:11]
	v_add_u32_e32 v4, v4, v48
	s_and_saveexec_b64 s[26:27], s[12:13]
; %bb.28:                               ;   in Loop: Header=BB0_19 Depth=1
	ds_write_b32 v32, v4
; %bb.29:                               ;   in Loop: Header=BB0_19 Depth=1
	s_or_b64 exec, exec, s[26:27]
	s_waitcnt lgkmcnt(0)
	s_barrier
	s_and_saveexec_b64 s[26:27], s[14:15]
	s_cbranch_execz .LBB0_31
; %bb.30:                               ;   in Loop: Header=BB0_19 Depth=1
	v_add_u32_e32 v48, v28, v30
	ds_read_b32 v49, v48
	s_waitcnt lgkmcnt(0)
	s_nop 0
	v_mov_b32_dpp v50, v49 row_shr:1 row_mask:0xf bank_mask:0xf
	v_cndmask_b32_e64 v50, v50, 0, s[22:23]
	v_add_u32_e32 v49, v50, v49
	s_nop 1
	v_mov_b32_dpp v50, v49 row_shr:2 row_mask:0xf bank_mask:0xf
	v_cndmask_b32_e64 v50, 0, v50, s[24:25]
	v_add_u32_e32 v49, v49, v50
	ds_write_b32 v48, v49
.LBB0_31:                               ;   in Loop: Header=BB0_19 Depth=1
	s_or_b64 exec, exec, s[26:27]
	v_mov_b32_e32 v48, 0
	s_waitcnt lgkmcnt(0)
	s_barrier
	s_and_saveexec_b64 s[26:27], s[16:17]
; %bb.32:                               ;   in Loop: Header=BB0_19 Depth=1
	ds_read_b32 v48, v33
; %bb.33:                               ;   in Loop: Header=BB0_19 Depth=1
	s_or_b64 exec, exec, s[26:27]
	s_waitcnt lgkmcnt(0)
	v_add_u32_e32 v4, v48, v4
	ds_bpermute_b32 v4, v31, v4
	s_add_i32 s36, s36, 8
	s_cmp_ge_u32 s36, s40
	s_mov_b64 s[26:27], -1
	v_readfirstlane_b32 s41, v0
	s_waitcnt lgkmcnt(0)
	v_cndmask_b32_e64 v4, v4, v48, s[18:19]
	v_cndmask_b32_e64 v48, v4, 0, s[20:21]
	v_add_u32_e32 v49, v48, v1
	v_add_u32_e32 v1, v49, v2
	v_add_u32_e32 v2, v1, v3
	ds_write2_b64 v28, v[48:49], v[1:2] offset0:2 offset1:3
	s_waitcnt lgkmcnt(0)
	s_barrier
	ds_read_b32 v1, v20 offset:16
	ds_read_b32 v2, v22 offset:16
	;; [unrolled: 1-line block ×4, first 2 shown]
	s_waitcnt lgkmcnt(0)
	v_add_u32_e32 v49, v1, v19
	v_add3_u32 v48, v23, v21, v2
	v_add3_u32 v47, v26, v24, v3
	;; [unrolled: 1-line block ×3, first 2 shown]
	v_lshlrev_b32_e32 v52, 2, v49
	v_lshlrev_b32_e32 v51, 2, v48
	;; [unrolled: 1-line block ×4, first 2 shown]
                                        ; implicit-def: $vgpr2
                                        ; implicit-def: $vgpr1
                                        ; implicit-def: $vgpr4
                                        ; implicit-def: $vgpr3
                                        ; implicit-def: $vgpr19_vgpr20
                                        ; implicit-def: $vgpr21_vgpr22
                                        ; implicit-def: $vgpr23_vgpr24
                                        ; implicit-def: $vgpr25_vgpr26
	s_cbranch_scc1 .LBB0_18
; %bb.34:                               ;   in Loop: Header=BB0_19 Depth=1
	v_lshl_add_u32 v19, v49, 2, v52
	s_barrier
	ds_write_b32 v52, v45
	ds_write_b32 v51, v44
	;; [unrolled: 1-line block ×4, first 2 shown]
	s_waitcnt lgkmcnt(0)
	s_barrier
	ds_read_b32 v3, v34
	ds_read_b32 v4, v35
	;; [unrolled: 1-line block ×4, first 2 shown]
	s_waitcnt lgkmcnt(0)
	s_barrier
	ds_write_b64 v19, v[17:18]
	v_lshl_add_u32 v19, v48, 2, v51
	ds_write_b64 v19, v[15:16]
	v_lshl_add_u32 v19, v47, 2, v50
	;; [unrolled: 2-line block ×3, first 2 shown]
	ds_write_b64 v19, v[11:12]
	s_waitcnt lgkmcnt(0)
	s_barrier
	ds_read_b64 v[19:20], v38
	ds_read_b64 v[21:22], v39
	;; [unrolled: 1-line block ×4, first 2 shown]
	s_add_i32 s41, s37, -8
	s_mov_b64 s[26:27], 0
	s_waitcnt lgkmcnt(0)
	s_barrier
	s_branch .LBB0_18
.LBB0_35:
	v_add_u32_e32 v1, v28, v30
	s_barrier
	ds_write_b32 v52, v45
	ds_write_b32 v51, v44
	;; [unrolled: 1-line block ×4, first 2 shown]
	s_waitcnt lgkmcnt(0)
	s_barrier
	ds_read2st64_b32 v[19:20], v1 offset1:4
	ds_read2st64_b32 v[21:22], v1 offset0:8 offset1:12
	v_lshl_add_u32 v1, v49, 2, v52
	s_waitcnt lgkmcnt(0)
	s_barrier
	ds_write_b64 v1, v[17:18]
	v_lshl_add_u32 v1, v48, 2, v51
	ds_write_b64 v1, v[15:16]
	v_lshl_add_u32 v1, v47, 2, v50
	;; [unrolled: 2-line block ×3, first 2 shown]
	ds_write_b64 v1, v[11:12]
	v_lshlrev_b32_e32 v11, 3, v0
	s_waitcnt lgkmcnt(0)
	s_barrier
	ds_read2st64_b64 v[5:8], v11 offset1:4
	ds_read2st64_b64 v[1:4], v11 offset0:8 offset1:12
	s_add_u32 s0, s38, s34
	s_addc_u32 s1, s39, s35
	v_mov_b32_e32 v10, s1
	v_add_co_u32_e64 v9, s[0:1], s0, v27
	v_not_b32_e32 v15, v19
	v_not_b32_e32 v14, v20
	;; [unrolled: 1-line block ×4, first 2 shown]
	s_andn2_b64 vcc, exec, s[30:31]
	v_addc_co_u32_e64 v10, s[0:1], 0, v10, s[0:1]
	s_cbranch_vccnz .LBB0_37
; %bb.36:
	s_lshl_b64 s[0:1], s[28:29], 3
	s_add_u32 s0, s42, s0
	s_addc_u32 s1, s43, s1
	v_mov_b32_e32 v16, s1
	v_add_co_u32_e32 v17, vcc, s0, v11
	v_addc_co_u32_e32 v18, vcc, 0, v16, vcc
	v_add_co_u32_e32 v16, vcc, 0x1000, v17
	global_store_dword v[9:10], v15, off
	global_store_dword v[9:10], v14, off offset:1024
	global_store_dword v[9:10], v13, off offset:2048
	;; [unrolled: 1-line block ×3, first 2 shown]
	s_waitcnt lgkmcnt(1)
	global_store_dwordx2 v11, v[5:6], s[0:1]
	global_store_dwordx2 v11, v[7:8], s[0:1] offset:2048
	v_addc_co_u32_e32 v17, vcc, 0, v18, vcc
	s_mov_b64 s[6:7], -1
	s_waitcnt lgkmcnt(0)
	global_store_dwordx2 v[16:17], v[1:2], off
	s_cbranch_execz .LBB0_38
	s_branch .LBB0_51
.LBB0_37:
	s_mov_b64 s[6:7], 0
.LBB0_38:
	v_cmp_gt_u32_e32 vcc, s33, v0
	s_and_saveexec_b64 s[0:1], vcc
	s_cbranch_execz .LBB0_40
; %bb.39:
	global_store_dword v[9:10], v15, off
.LBB0_40:
	s_or_b64 exec, exec, s[0:1]
	v_or_b32_e32 v15, 0x100, v0
	v_cmp_gt_u32_e64 s[0:1], s33, v15
	s_and_saveexec_b64 s[2:3], s[0:1]
	s_cbranch_execz .LBB0_42
; %bb.41:
	global_store_dword v[9:10], v14, off offset:1024
.LBB0_42:
	s_or_b64 exec, exec, s[2:3]
	v_or_b32_e32 v14, 0x200, v0
	v_cmp_gt_u32_e64 s[2:3], s33, v14
	s_and_saveexec_b64 s[4:5], s[2:3]
	s_cbranch_execz .LBB0_44
; %bb.43:
	global_store_dword v[9:10], v13, off offset:2048
.LBB0_44:
	;; [unrolled: 8-line block ×3, first 2 shown]
	s_or_b64 exec, exec, s[4:5]
	s_lshl_b64 s[4:5], s[28:29], 3
	s_add_u32 s4, s42, s4
	s_addc_u32 s5, s43, s5
	v_mov_b32_e32 v0, s5
	v_add_co_u32_e64 v9, s[4:5], s4, v11
	v_addc_co_u32_e64 v10, s[4:5], 0, v0, s[4:5]
	s_and_saveexec_b64 s[4:5], vcc
	s_cbranch_execnz .LBB0_57
; %bb.47:
	s_or_b64 exec, exec, s[4:5]
	s_and_saveexec_b64 s[4:5], s[0:1]
	s_cbranch_execnz .LBB0_58
.LBB0_48:
	s_or_b64 exec, exec, s[4:5]
	s_and_saveexec_b64 s[0:1], s[2:3]
	s_cbranch_execz .LBB0_50
.LBB0_49:
	s_waitcnt lgkmcnt(1)
	v_add_co_u32_e32 v5, vcc, 0x1000, v9
	v_addc_co_u32_e32 v6, vcc, 0, v10, vcc
	s_waitcnt lgkmcnt(0)
	global_store_dwordx2 v[5:6], v[1:2], off
.LBB0_50:
	s_or_b64 exec, exec, s[0:1]
.LBB0_51:
	s_and_saveexec_b64 s[0:1], s[6:7]
	s_cbranch_execnz .LBB0_53
; %bb.52:
	s_endpgm
.LBB0_53:
	s_lshl_b64 s[0:1], s[28:29], 3
	s_add_u32 s0, s42, s0
	s_addc_u32 s1, s43, s1
	v_mov_b32_e32 v0, s1
	s_waitcnt lgkmcnt(0)
	v_add_co_u32_e32 v1, vcc, s0, v11
	v_addc_co_u32_e32 v2, vcc, 0, v0, vcc
	v_add_co_u32_e32 v0, vcc, 0x1000, v1
	v_addc_co_u32_e32 v1, vcc, 0, v2, vcc
	global_store_dwordx2 v[0:1], v[3:4], off offset:2048
	s_endpgm
.LBB0_54:
	global_load_dwordx2 v[19:20], v[7:8], off
	s_or_b64 exec, exec, s[8:9]
                                        ; implicit-def: $vgpr21_vgpr22
	s_and_saveexec_b64 s[8:9], s[0:1]
	s_cbranch_execz .LBB0_13
.LBB0_55:
	global_load_dwordx2 v[21:22], v[7:8], off offset:512
	s_or_b64 exec, exec, s[8:9]
                                        ; implicit-def: $vgpr23_vgpr24
	s_and_saveexec_b64 s[0:1], s[2:3]
	s_cbranch_execz .LBB0_14
.LBB0_56:
	global_load_dwordx2 v[23:24], v[7:8], off offset:1024
	s_or_b64 exec, exec, s[0:1]
                                        ; implicit-def: $vgpr25_vgpr26
	s_and_saveexec_b64 s[0:1], s[6:7]
	s_cbranch_execnz .LBB0_15
	s_branch .LBB0_16
.LBB0_57:
	s_waitcnt lgkmcnt(1)
	global_store_dwordx2 v[9:10], v[5:6], off
	s_or_b64 exec, exec, s[4:5]
	s_and_saveexec_b64 s[4:5], s[0:1]
	s_cbranch_execz .LBB0_48
.LBB0_58:
	s_waitcnt lgkmcnt(1)
	global_store_dwordx2 v[9:10], v[7:8], off offset:2048
	s_or_b64 exec, exec, s[4:5]
	s_and_saveexec_b64 s[0:1], s[2:3]
	s_cbranch_execnz .LBB0_49
	s_branch .LBB0_50
	.section	.rodata,"a",@progbits
	.p2align	6, 0x0
	.amdhsa_kernel _ZN7rocprim17ROCPRIM_304000_NS6detail28radix_sort_block_sort_kernelINS1_36wrapped_radix_sort_block_sort_configINS0_13kernel_configILj256ELj4ELj4294967295EEEjN2at4cuda3cub6detail10OpaqueTypeILi8EEEEELb1EPKjPjPKSB_PSB_NS0_19identity_decomposerEEEvT1_T2_T3_T4_jT5_jj
		.amdhsa_group_segment_fixed_size 8192
		.amdhsa_private_segment_fixed_size 0
		.amdhsa_kernarg_size 304
		.amdhsa_user_sgpr_count 6
		.amdhsa_user_sgpr_private_segment_buffer 1
		.amdhsa_user_sgpr_dispatch_ptr 0
		.amdhsa_user_sgpr_queue_ptr 0
		.amdhsa_user_sgpr_kernarg_segment_ptr 1
		.amdhsa_user_sgpr_dispatch_id 0
		.amdhsa_user_sgpr_flat_scratch_init 0
		.amdhsa_user_sgpr_private_segment_size 0
		.amdhsa_uses_dynamic_stack 0
		.amdhsa_system_sgpr_private_segment_wavefront_offset 0
		.amdhsa_system_sgpr_workgroup_id_x 1
		.amdhsa_system_sgpr_workgroup_id_y 0
		.amdhsa_system_sgpr_workgroup_id_z 0
		.amdhsa_system_sgpr_workgroup_info 0
		.amdhsa_system_vgpr_workitem_id 2
		.amdhsa_next_free_vgpr 53
		.amdhsa_next_free_sgpr 61
		.amdhsa_reserve_vcc 1
		.amdhsa_reserve_flat_scratch 0
		.amdhsa_float_round_mode_32 0
		.amdhsa_float_round_mode_16_64 0
		.amdhsa_float_denorm_mode_32 3
		.amdhsa_float_denorm_mode_16_64 3
		.amdhsa_dx10_clamp 1
		.amdhsa_ieee_mode 1
		.amdhsa_fp16_overflow 0
		.amdhsa_exception_fp_ieee_invalid_op 0
		.amdhsa_exception_fp_denorm_src 0
		.amdhsa_exception_fp_ieee_div_zero 0
		.amdhsa_exception_fp_ieee_overflow 0
		.amdhsa_exception_fp_ieee_underflow 0
		.amdhsa_exception_fp_ieee_inexact 0
		.amdhsa_exception_int_div_zero 0
	.end_amdhsa_kernel
	.section	.text._ZN7rocprim17ROCPRIM_304000_NS6detail28radix_sort_block_sort_kernelINS1_36wrapped_radix_sort_block_sort_configINS0_13kernel_configILj256ELj4ELj4294967295EEEjN2at4cuda3cub6detail10OpaqueTypeILi8EEEEELb1EPKjPjPKSB_PSB_NS0_19identity_decomposerEEEvT1_T2_T3_T4_jT5_jj,"axG",@progbits,_ZN7rocprim17ROCPRIM_304000_NS6detail28radix_sort_block_sort_kernelINS1_36wrapped_radix_sort_block_sort_configINS0_13kernel_configILj256ELj4ELj4294967295EEEjN2at4cuda3cub6detail10OpaqueTypeILi8EEEEELb1EPKjPjPKSB_PSB_NS0_19identity_decomposerEEEvT1_T2_T3_T4_jT5_jj,comdat
.Lfunc_end0:
	.size	_ZN7rocprim17ROCPRIM_304000_NS6detail28radix_sort_block_sort_kernelINS1_36wrapped_radix_sort_block_sort_configINS0_13kernel_configILj256ELj4ELj4294967295EEEjN2at4cuda3cub6detail10OpaqueTypeILi8EEEEELb1EPKjPjPKSB_PSB_NS0_19identity_decomposerEEEvT1_T2_T3_T4_jT5_jj, .Lfunc_end0-_ZN7rocprim17ROCPRIM_304000_NS6detail28radix_sort_block_sort_kernelINS1_36wrapped_radix_sort_block_sort_configINS0_13kernel_configILj256ELj4ELj4294967295EEEjN2at4cuda3cub6detail10OpaqueTypeILi8EEEEELb1EPKjPjPKSB_PSB_NS0_19identity_decomposerEEEvT1_T2_T3_T4_jT5_jj
                                        ; -- End function
	.set _ZN7rocprim17ROCPRIM_304000_NS6detail28radix_sort_block_sort_kernelINS1_36wrapped_radix_sort_block_sort_configINS0_13kernel_configILj256ELj4ELj4294967295EEEjN2at4cuda3cub6detail10OpaqueTypeILi8EEEEELb1EPKjPjPKSB_PSB_NS0_19identity_decomposerEEEvT1_T2_T3_T4_jT5_jj.num_vgpr, 53
	.set _ZN7rocprim17ROCPRIM_304000_NS6detail28radix_sort_block_sort_kernelINS1_36wrapped_radix_sort_block_sort_configINS0_13kernel_configILj256ELj4ELj4294967295EEEjN2at4cuda3cub6detail10OpaqueTypeILi8EEEEELb1EPKjPjPKSB_PSB_NS0_19identity_decomposerEEEvT1_T2_T3_T4_jT5_jj.num_agpr, 0
	.set _ZN7rocprim17ROCPRIM_304000_NS6detail28radix_sort_block_sort_kernelINS1_36wrapped_radix_sort_block_sort_configINS0_13kernel_configILj256ELj4ELj4294967295EEEjN2at4cuda3cub6detail10OpaqueTypeILi8EEEEELb1EPKjPjPKSB_PSB_NS0_19identity_decomposerEEEvT1_T2_T3_T4_jT5_jj.numbered_sgpr, 46
	.set _ZN7rocprim17ROCPRIM_304000_NS6detail28radix_sort_block_sort_kernelINS1_36wrapped_radix_sort_block_sort_configINS0_13kernel_configILj256ELj4ELj4294967295EEEjN2at4cuda3cub6detail10OpaqueTypeILi8EEEEELb1EPKjPjPKSB_PSB_NS0_19identity_decomposerEEEvT1_T2_T3_T4_jT5_jj.num_named_barrier, 0
	.set _ZN7rocprim17ROCPRIM_304000_NS6detail28radix_sort_block_sort_kernelINS1_36wrapped_radix_sort_block_sort_configINS0_13kernel_configILj256ELj4ELj4294967295EEEjN2at4cuda3cub6detail10OpaqueTypeILi8EEEEELb1EPKjPjPKSB_PSB_NS0_19identity_decomposerEEEvT1_T2_T3_T4_jT5_jj.private_seg_size, 0
	.set _ZN7rocprim17ROCPRIM_304000_NS6detail28radix_sort_block_sort_kernelINS1_36wrapped_radix_sort_block_sort_configINS0_13kernel_configILj256ELj4ELj4294967295EEEjN2at4cuda3cub6detail10OpaqueTypeILi8EEEEELb1EPKjPjPKSB_PSB_NS0_19identity_decomposerEEEvT1_T2_T3_T4_jT5_jj.uses_vcc, 1
	.set _ZN7rocprim17ROCPRIM_304000_NS6detail28radix_sort_block_sort_kernelINS1_36wrapped_radix_sort_block_sort_configINS0_13kernel_configILj256ELj4ELj4294967295EEEjN2at4cuda3cub6detail10OpaqueTypeILi8EEEEELb1EPKjPjPKSB_PSB_NS0_19identity_decomposerEEEvT1_T2_T3_T4_jT5_jj.uses_flat_scratch, 0
	.set _ZN7rocprim17ROCPRIM_304000_NS6detail28radix_sort_block_sort_kernelINS1_36wrapped_radix_sort_block_sort_configINS0_13kernel_configILj256ELj4ELj4294967295EEEjN2at4cuda3cub6detail10OpaqueTypeILi8EEEEELb1EPKjPjPKSB_PSB_NS0_19identity_decomposerEEEvT1_T2_T3_T4_jT5_jj.has_dyn_sized_stack, 0
	.set _ZN7rocprim17ROCPRIM_304000_NS6detail28radix_sort_block_sort_kernelINS1_36wrapped_radix_sort_block_sort_configINS0_13kernel_configILj256ELj4ELj4294967295EEEjN2at4cuda3cub6detail10OpaqueTypeILi8EEEEELb1EPKjPjPKSB_PSB_NS0_19identity_decomposerEEEvT1_T2_T3_T4_jT5_jj.has_recursion, 0
	.set _ZN7rocprim17ROCPRIM_304000_NS6detail28radix_sort_block_sort_kernelINS1_36wrapped_radix_sort_block_sort_configINS0_13kernel_configILj256ELj4ELj4294967295EEEjN2at4cuda3cub6detail10OpaqueTypeILi8EEEEELb1EPKjPjPKSB_PSB_NS0_19identity_decomposerEEEvT1_T2_T3_T4_jT5_jj.has_indirect_call, 0
	.section	.AMDGPU.csdata,"",@progbits
; Kernel info:
; codeLenInByte = 3812
; TotalNumSgprs: 50
; NumVgprs: 53
; ScratchSize: 0
; MemoryBound: 0
; FloatMode: 240
; IeeeMode: 1
; LDSByteSize: 8192 bytes/workgroup (compile time only)
; SGPRBlocks: 8
; VGPRBlocks: 13
; NumSGPRsForWavesPerEU: 65
; NumVGPRsForWavesPerEU: 53
; Occupancy: 4
; WaveLimiterHint : 1
; COMPUTE_PGM_RSRC2:SCRATCH_EN: 0
; COMPUTE_PGM_RSRC2:USER_SGPR: 6
; COMPUTE_PGM_RSRC2:TRAP_HANDLER: 0
; COMPUTE_PGM_RSRC2:TGID_X_EN: 1
; COMPUTE_PGM_RSRC2:TGID_Y_EN: 0
; COMPUTE_PGM_RSRC2:TGID_Z_EN: 0
; COMPUTE_PGM_RSRC2:TIDIG_COMP_CNT: 2
	.section	.text._ZN7rocprim17ROCPRIM_304000_NS6detail39device_merge_sort_compile_time_verifierINS1_36wrapped_merge_sort_block_sort_configINS1_28merge_sort_block_sort_configILj256ELj4ELNS0_20block_sort_algorithmE0EEEjN2at4cuda3cub6detail10OpaqueTypeILi8EEEEENS1_37wrapped_merge_sort_block_merge_configINS0_14default_configEjSC_EEEEvv,"axG",@progbits,_ZN7rocprim17ROCPRIM_304000_NS6detail39device_merge_sort_compile_time_verifierINS1_36wrapped_merge_sort_block_sort_configINS1_28merge_sort_block_sort_configILj256ELj4ELNS0_20block_sort_algorithmE0EEEjN2at4cuda3cub6detail10OpaqueTypeILi8EEEEENS1_37wrapped_merge_sort_block_merge_configINS0_14default_configEjSC_EEEEvv,comdat
	.protected	_ZN7rocprim17ROCPRIM_304000_NS6detail39device_merge_sort_compile_time_verifierINS1_36wrapped_merge_sort_block_sort_configINS1_28merge_sort_block_sort_configILj256ELj4ELNS0_20block_sort_algorithmE0EEEjN2at4cuda3cub6detail10OpaqueTypeILi8EEEEENS1_37wrapped_merge_sort_block_merge_configINS0_14default_configEjSC_EEEEvv ; -- Begin function _ZN7rocprim17ROCPRIM_304000_NS6detail39device_merge_sort_compile_time_verifierINS1_36wrapped_merge_sort_block_sort_configINS1_28merge_sort_block_sort_configILj256ELj4ELNS0_20block_sort_algorithmE0EEEjN2at4cuda3cub6detail10OpaqueTypeILi8EEEEENS1_37wrapped_merge_sort_block_merge_configINS0_14default_configEjSC_EEEEvv
	.globl	_ZN7rocprim17ROCPRIM_304000_NS6detail39device_merge_sort_compile_time_verifierINS1_36wrapped_merge_sort_block_sort_configINS1_28merge_sort_block_sort_configILj256ELj4ELNS0_20block_sort_algorithmE0EEEjN2at4cuda3cub6detail10OpaqueTypeILi8EEEEENS1_37wrapped_merge_sort_block_merge_configINS0_14default_configEjSC_EEEEvv
	.p2align	8
	.type	_ZN7rocprim17ROCPRIM_304000_NS6detail39device_merge_sort_compile_time_verifierINS1_36wrapped_merge_sort_block_sort_configINS1_28merge_sort_block_sort_configILj256ELj4ELNS0_20block_sort_algorithmE0EEEjN2at4cuda3cub6detail10OpaqueTypeILi8EEEEENS1_37wrapped_merge_sort_block_merge_configINS0_14default_configEjSC_EEEEvv,@function
_ZN7rocprim17ROCPRIM_304000_NS6detail39device_merge_sort_compile_time_verifierINS1_36wrapped_merge_sort_block_sort_configINS1_28merge_sort_block_sort_configILj256ELj4ELNS0_20block_sort_algorithmE0EEEjN2at4cuda3cub6detail10OpaqueTypeILi8EEEEENS1_37wrapped_merge_sort_block_merge_configINS0_14default_configEjSC_EEEEvv: ; @_ZN7rocprim17ROCPRIM_304000_NS6detail39device_merge_sort_compile_time_verifierINS1_36wrapped_merge_sort_block_sort_configINS1_28merge_sort_block_sort_configILj256ELj4ELNS0_20block_sort_algorithmE0EEEjN2at4cuda3cub6detail10OpaqueTypeILi8EEEEENS1_37wrapped_merge_sort_block_merge_configINS0_14default_configEjSC_EEEEvv
; %bb.0:
	s_endpgm
	.section	.rodata,"a",@progbits
	.p2align	6, 0x0
	.amdhsa_kernel _ZN7rocprim17ROCPRIM_304000_NS6detail39device_merge_sort_compile_time_verifierINS1_36wrapped_merge_sort_block_sort_configINS1_28merge_sort_block_sort_configILj256ELj4ELNS0_20block_sort_algorithmE0EEEjN2at4cuda3cub6detail10OpaqueTypeILi8EEEEENS1_37wrapped_merge_sort_block_merge_configINS0_14default_configEjSC_EEEEvv
		.amdhsa_group_segment_fixed_size 0
		.amdhsa_private_segment_fixed_size 0
		.amdhsa_kernarg_size 0
		.amdhsa_user_sgpr_count 4
		.amdhsa_user_sgpr_private_segment_buffer 1
		.amdhsa_user_sgpr_dispatch_ptr 0
		.amdhsa_user_sgpr_queue_ptr 0
		.amdhsa_user_sgpr_kernarg_segment_ptr 0
		.amdhsa_user_sgpr_dispatch_id 0
		.amdhsa_user_sgpr_flat_scratch_init 0
		.amdhsa_user_sgpr_private_segment_size 0
		.amdhsa_uses_dynamic_stack 0
		.amdhsa_system_sgpr_private_segment_wavefront_offset 0
		.amdhsa_system_sgpr_workgroup_id_x 1
		.amdhsa_system_sgpr_workgroup_id_y 0
		.amdhsa_system_sgpr_workgroup_id_z 0
		.amdhsa_system_sgpr_workgroup_info 0
		.amdhsa_system_vgpr_workitem_id 0
		.amdhsa_next_free_vgpr 1
		.amdhsa_next_free_sgpr 0
		.amdhsa_reserve_vcc 0
		.amdhsa_reserve_flat_scratch 0
		.amdhsa_float_round_mode_32 0
		.amdhsa_float_round_mode_16_64 0
		.amdhsa_float_denorm_mode_32 3
		.amdhsa_float_denorm_mode_16_64 3
		.amdhsa_dx10_clamp 1
		.amdhsa_ieee_mode 1
		.amdhsa_fp16_overflow 0
		.amdhsa_exception_fp_ieee_invalid_op 0
		.amdhsa_exception_fp_denorm_src 0
		.amdhsa_exception_fp_ieee_div_zero 0
		.amdhsa_exception_fp_ieee_overflow 0
		.amdhsa_exception_fp_ieee_underflow 0
		.amdhsa_exception_fp_ieee_inexact 0
		.amdhsa_exception_int_div_zero 0
	.end_amdhsa_kernel
	.section	.text._ZN7rocprim17ROCPRIM_304000_NS6detail39device_merge_sort_compile_time_verifierINS1_36wrapped_merge_sort_block_sort_configINS1_28merge_sort_block_sort_configILj256ELj4ELNS0_20block_sort_algorithmE0EEEjN2at4cuda3cub6detail10OpaqueTypeILi8EEEEENS1_37wrapped_merge_sort_block_merge_configINS0_14default_configEjSC_EEEEvv,"axG",@progbits,_ZN7rocprim17ROCPRIM_304000_NS6detail39device_merge_sort_compile_time_verifierINS1_36wrapped_merge_sort_block_sort_configINS1_28merge_sort_block_sort_configILj256ELj4ELNS0_20block_sort_algorithmE0EEEjN2at4cuda3cub6detail10OpaqueTypeILi8EEEEENS1_37wrapped_merge_sort_block_merge_configINS0_14default_configEjSC_EEEEvv,comdat
.Lfunc_end1:
	.size	_ZN7rocprim17ROCPRIM_304000_NS6detail39device_merge_sort_compile_time_verifierINS1_36wrapped_merge_sort_block_sort_configINS1_28merge_sort_block_sort_configILj256ELj4ELNS0_20block_sort_algorithmE0EEEjN2at4cuda3cub6detail10OpaqueTypeILi8EEEEENS1_37wrapped_merge_sort_block_merge_configINS0_14default_configEjSC_EEEEvv, .Lfunc_end1-_ZN7rocprim17ROCPRIM_304000_NS6detail39device_merge_sort_compile_time_verifierINS1_36wrapped_merge_sort_block_sort_configINS1_28merge_sort_block_sort_configILj256ELj4ELNS0_20block_sort_algorithmE0EEEjN2at4cuda3cub6detail10OpaqueTypeILi8EEEEENS1_37wrapped_merge_sort_block_merge_configINS0_14default_configEjSC_EEEEvv
                                        ; -- End function
	.set _ZN7rocprim17ROCPRIM_304000_NS6detail39device_merge_sort_compile_time_verifierINS1_36wrapped_merge_sort_block_sort_configINS1_28merge_sort_block_sort_configILj256ELj4ELNS0_20block_sort_algorithmE0EEEjN2at4cuda3cub6detail10OpaqueTypeILi8EEEEENS1_37wrapped_merge_sort_block_merge_configINS0_14default_configEjSC_EEEEvv.num_vgpr, 0
	.set _ZN7rocprim17ROCPRIM_304000_NS6detail39device_merge_sort_compile_time_verifierINS1_36wrapped_merge_sort_block_sort_configINS1_28merge_sort_block_sort_configILj256ELj4ELNS0_20block_sort_algorithmE0EEEjN2at4cuda3cub6detail10OpaqueTypeILi8EEEEENS1_37wrapped_merge_sort_block_merge_configINS0_14default_configEjSC_EEEEvv.num_agpr, 0
	.set _ZN7rocprim17ROCPRIM_304000_NS6detail39device_merge_sort_compile_time_verifierINS1_36wrapped_merge_sort_block_sort_configINS1_28merge_sort_block_sort_configILj256ELj4ELNS0_20block_sort_algorithmE0EEEjN2at4cuda3cub6detail10OpaqueTypeILi8EEEEENS1_37wrapped_merge_sort_block_merge_configINS0_14default_configEjSC_EEEEvv.numbered_sgpr, 0
	.set _ZN7rocprim17ROCPRIM_304000_NS6detail39device_merge_sort_compile_time_verifierINS1_36wrapped_merge_sort_block_sort_configINS1_28merge_sort_block_sort_configILj256ELj4ELNS0_20block_sort_algorithmE0EEEjN2at4cuda3cub6detail10OpaqueTypeILi8EEEEENS1_37wrapped_merge_sort_block_merge_configINS0_14default_configEjSC_EEEEvv.num_named_barrier, 0
	.set _ZN7rocprim17ROCPRIM_304000_NS6detail39device_merge_sort_compile_time_verifierINS1_36wrapped_merge_sort_block_sort_configINS1_28merge_sort_block_sort_configILj256ELj4ELNS0_20block_sort_algorithmE0EEEjN2at4cuda3cub6detail10OpaqueTypeILi8EEEEENS1_37wrapped_merge_sort_block_merge_configINS0_14default_configEjSC_EEEEvv.private_seg_size, 0
	.set _ZN7rocprim17ROCPRIM_304000_NS6detail39device_merge_sort_compile_time_verifierINS1_36wrapped_merge_sort_block_sort_configINS1_28merge_sort_block_sort_configILj256ELj4ELNS0_20block_sort_algorithmE0EEEjN2at4cuda3cub6detail10OpaqueTypeILi8EEEEENS1_37wrapped_merge_sort_block_merge_configINS0_14default_configEjSC_EEEEvv.uses_vcc, 0
	.set _ZN7rocprim17ROCPRIM_304000_NS6detail39device_merge_sort_compile_time_verifierINS1_36wrapped_merge_sort_block_sort_configINS1_28merge_sort_block_sort_configILj256ELj4ELNS0_20block_sort_algorithmE0EEEjN2at4cuda3cub6detail10OpaqueTypeILi8EEEEENS1_37wrapped_merge_sort_block_merge_configINS0_14default_configEjSC_EEEEvv.uses_flat_scratch, 0
	.set _ZN7rocprim17ROCPRIM_304000_NS6detail39device_merge_sort_compile_time_verifierINS1_36wrapped_merge_sort_block_sort_configINS1_28merge_sort_block_sort_configILj256ELj4ELNS0_20block_sort_algorithmE0EEEjN2at4cuda3cub6detail10OpaqueTypeILi8EEEEENS1_37wrapped_merge_sort_block_merge_configINS0_14default_configEjSC_EEEEvv.has_dyn_sized_stack, 0
	.set _ZN7rocprim17ROCPRIM_304000_NS6detail39device_merge_sort_compile_time_verifierINS1_36wrapped_merge_sort_block_sort_configINS1_28merge_sort_block_sort_configILj256ELj4ELNS0_20block_sort_algorithmE0EEEjN2at4cuda3cub6detail10OpaqueTypeILi8EEEEENS1_37wrapped_merge_sort_block_merge_configINS0_14default_configEjSC_EEEEvv.has_recursion, 0
	.set _ZN7rocprim17ROCPRIM_304000_NS6detail39device_merge_sort_compile_time_verifierINS1_36wrapped_merge_sort_block_sort_configINS1_28merge_sort_block_sort_configILj256ELj4ELNS0_20block_sort_algorithmE0EEEjN2at4cuda3cub6detail10OpaqueTypeILi8EEEEENS1_37wrapped_merge_sort_block_merge_configINS0_14default_configEjSC_EEEEvv.has_indirect_call, 0
	.section	.AMDGPU.csdata,"",@progbits
; Kernel info:
; codeLenInByte = 4
; TotalNumSgprs: 4
; NumVgprs: 0
; ScratchSize: 0
; MemoryBound: 0
; FloatMode: 240
; IeeeMode: 1
; LDSByteSize: 0 bytes/workgroup (compile time only)
; SGPRBlocks: 0
; VGPRBlocks: 0
; NumSGPRsForWavesPerEU: 4
; NumVGPRsForWavesPerEU: 1
; Occupancy: 10
; WaveLimiterHint : 0
; COMPUTE_PGM_RSRC2:SCRATCH_EN: 0
; COMPUTE_PGM_RSRC2:USER_SGPR: 4
; COMPUTE_PGM_RSRC2:TRAP_HANDLER: 0
; COMPUTE_PGM_RSRC2:TGID_X_EN: 1
; COMPUTE_PGM_RSRC2:TGID_Y_EN: 0
; COMPUTE_PGM_RSRC2:TGID_Z_EN: 0
; COMPUTE_PGM_RSRC2:TIDIG_COMP_CNT: 0
	.section	.text._ZN7rocprim17ROCPRIM_304000_NS6detail45device_block_merge_mergepath_partition_kernelINS1_37wrapped_merge_sort_block_merge_configINS0_14default_configEjN2at4cuda3cub6detail10OpaqueTypeILi8EEEEEPjjNS1_19radix_merge_compareILb1ELb0EjNS0_19identity_decomposerEEEEEvT0_T1_jPSH_T2_SH_,"axG",@progbits,_ZN7rocprim17ROCPRIM_304000_NS6detail45device_block_merge_mergepath_partition_kernelINS1_37wrapped_merge_sort_block_merge_configINS0_14default_configEjN2at4cuda3cub6detail10OpaqueTypeILi8EEEEEPjjNS1_19radix_merge_compareILb1ELb0EjNS0_19identity_decomposerEEEEEvT0_T1_jPSH_T2_SH_,comdat
	.protected	_ZN7rocprim17ROCPRIM_304000_NS6detail45device_block_merge_mergepath_partition_kernelINS1_37wrapped_merge_sort_block_merge_configINS0_14default_configEjN2at4cuda3cub6detail10OpaqueTypeILi8EEEEEPjjNS1_19radix_merge_compareILb1ELb0EjNS0_19identity_decomposerEEEEEvT0_T1_jPSH_T2_SH_ ; -- Begin function _ZN7rocprim17ROCPRIM_304000_NS6detail45device_block_merge_mergepath_partition_kernelINS1_37wrapped_merge_sort_block_merge_configINS0_14default_configEjN2at4cuda3cub6detail10OpaqueTypeILi8EEEEEPjjNS1_19radix_merge_compareILb1ELb0EjNS0_19identity_decomposerEEEEEvT0_T1_jPSH_T2_SH_
	.globl	_ZN7rocprim17ROCPRIM_304000_NS6detail45device_block_merge_mergepath_partition_kernelINS1_37wrapped_merge_sort_block_merge_configINS0_14default_configEjN2at4cuda3cub6detail10OpaqueTypeILi8EEEEEPjjNS1_19radix_merge_compareILb1ELb0EjNS0_19identity_decomposerEEEEEvT0_T1_jPSH_T2_SH_
	.p2align	8
	.type	_ZN7rocprim17ROCPRIM_304000_NS6detail45device_block_merge_mergepath_partition_kernelINS1_37wrapped_merge_sort_block_merge_configINS0_14default_configEjN2at4cuda3cub6detail10OpaqueTypeILi8EEEEEPjjNS1_19radix_merge_compareILb1ELb0EjNS0_19identity_decomposerEEEEEvT0_T1_jPSH_T2_SH_,@function
_ZN7rocprim17ROCPRIM_304000_NS6detail45device_block_merge_mergepath_partition_kernelINS1_37wrapped_merge_sort_block_merge_configINS0_14default_configEjN2at4cuda3cub6detail10OpaqueTypeILi8EEEEEPjjNS1_19radix_merge_compareILb1ELb0EjNS0_19identity_decomposerEEEEEvT0_T1_jPSH_T2_SH_: ; @_ZN7rocprim17ROCPRIM_304000_NS6detail45device_block_merge_mergepath_partition_kernelINS1_37wrapped_merge_sort_block_merge_configINS0_14default_configEjN2at4cuda3cub6detail10OpaqueTypeILi8EEEEEPjjNS1_19radix_merge_compareILb1ELb0EjNS0_19identity_decomposerEEEEEvT0_T1_jPSH_T2_SH_
; %bb.0:
	s_load_dwordx2 s[0:1], s[4:5], 0x8
	v_lshl_or_b32 v0, s6, 7, v0
	s_waitcnt lgkmcnt(0)
	v_cmp_gt_u32_e32 vcc, s1, v0
	s_and_saveexec_b64 s[2:3], vcc
	s_cbranch_execz .LBB2_6
; %bb.1:
	s_load_dword s1, s[4:5], 0x1c
	s_waitcnt lgkmcnt(0)
	s_lshr_b32 s2, s1, 8
	s_and_b32 s2, s2, 0xfffffe
	s_add_i32 s3, s2, -1
	s_sub_i32 s2, 0, s2
	v_and_b32_e32 v1, s2, v0
	v_lshlrev_b32_e32 v3, 9, v1
	v_min_u32_e32 v1, s0, v3
	v_add_u32_e32 v3, s1, v3
	v_min_u32_e32 v3, s0, v3
	v_add_u32_e32 v4, s1, v3
	v_and_b32_e32 v2, s3, v0
	v_min_u32_e32 v4, s0, v4
	v_lshlrev_b32_e32 v2, 9, v2
	v_sub_u32_e32 v5, v4, v1
	v_min_u32_e32 v6, v5, v2
	v_sub_u32_e32 v2, v3, v1
	v_sub_u32_e32 v4, v4, v3
	v_sub_u32_e64 v5, v6, v4 clamp
	v_min_u32_e32 v7, v6, v2
	v_cmp_lt_u32_e32 vcc, v5, v7
	s_and_saveexec_b64 s[0:1], vcc
	s_cbranch_execz .LBB2_5
; %bb.2:
	s_load_dwordx2 s[2:3], s[4:5], 0x0
	v_mov_b32_e32 v4, 0
	v_mov_b32_e32 v2, v4
	v_lshlrev_b64 v[8:9], 2, v[1:2]
	s_waitcnt lgkmcnt(0)
	v_mov_b32_e32 v11, s3
	v_add_co_u32_e32 v2, vcc, s2, v8
	v_addc_co_u32_e32 v8, vcc, v11, v9, vcc
	v_lshlrev_b64 v[9:10], 2, v[3:4]
	v_add_co_u32_e32 v9, vcc, s2, v9
	v_addc_co_u32_e32 v10, vcc, v11, v10, vcc
	s_mov_b64 s[2:3], 0
.LBB2_3:                                ; =>This Inner Loop Header: Depth=1
	v_add_u32_e32 v3, v7, v5
	v_lshrrev_b32_e32 v3, 1, v3
	v_lshlrev_b64 v[13:14], 2, v[3:4]
	v_mov_b32_e32 v12, v4
	v_xad_u32 v11, v3, -1, v6
	v_lshlrev_b64 v[11:12], 2, v[11:12]
	v_add_co_u32_e32 v13, vcc, v2, v13
	v_addc_co_u32_e32 v14, vcc, v8, v14, vcc
	v_add_co_u32_e32 v11, vcc, v9, v11
	v_addc_co_u32_e32 v12, vcc, v10, v12, vcc
	global_load_dword v15, v[13:14], off
	global_load_dword v16, v[11:12], off
	v_add_u32_e32 v11, 1, v3
	s_waitcnt vmcnt(0)
	v_cmp_gt_u32_e32 vcc, v16, v15
	v_cndmask_b32_e32 v7, v7, v3, vcc
	v_cndmask_b32_e32 v5, v11, v5, vcc
	v_cmp_ge_u32_e32 vcc, v5, v7
	s_or_b64 s[2:3], vcc, s[2:3]
	s_andn2_b64 exec, exec, s[2:3]
	s_cbranch_execnz .LBB2_3
; %bb.4:
	s_or_b64 exec, exec, s[2:3]
.LBB2_5:
	s_or_b64 exec, exec, s[0:1]
	s_load_dwordx2 s[0:1], s[4:5], 0x10
	v_add_u32_e32 v2, v5, v1
	v_mov_b32_e32 v1, 0
	v_lshlrev_b64 v[0:1], 2, v[0:1]
	s_waitcnt lgkmcnt(0)
	v_mov_b32_e32 v3, s1
	v_add_co_u32_e32 v0, vcc, s0, v0
	v_addc_co_u32_e32 v1, vcc, v3, v1, vcc
	global_store_dword v[0:1], v2, off
.LBB2_6:
	s_endpgm
	.section	.rodata,"a",@progbits
	.p2align	6, 0x0
	.amdhsa_kernel _ZN7rocprim17ROCPRIM_304000_NS6detail45device_block_merge_mergepath_partition_kernelINS1_37wrapped_merge_sort_block_merge_configINS0_14default_configEjN2at4cuda3cub6detail10OpaqueTypeILi8EEEEEPjjNS1_19radix_merge_compareILb1ELb0EjNS0_19identity_decomposerEEEEEvT0_T1_jPSH_T2_SH_
		.amdhsa_group_segment_fixed_size 0
		.amdhsa_private_segment_fixed_size 0
		.amdhsa_kernarg_size 32
		.amdhsa_user_sgpr_count 6
		.amdhsa_user_sgpr_private_segment_buffer 1
		.amdhsa_user_sgpr_dispatch_ptr 0
		.amdhsa_user_sgpr_queue_ptr 0
		.amdhsa_user_sgpr_kernarg_segment_ptr 1
		.amdhsa_user_sgpr_dispatch_id 0
		.amdhsa_user_sgpr_flat_scratch_init 0
		.amdhsa_user_sgpr_private_segment_size 0
		.amdhsa_uses_dynamic_stack 0
		.amdhsa_system_sgpr_private_segment_wavefront_offset 0
		.amdhsa_system_sgpr_workgroup_id_x 1
		.amdhsa_system_sgpr_workgroup_id_y 0
		.amdhsa_system_sgpr_workgroup_id_z 0
		.amdhsa_system_sgpr_workgroup_info 0
		.amdhsa_system_vgpr_workitem_id 0
		.amdhsa_next_free_vgpr 17
		.amdhsa_next_free_sgpr 7
		.amdhsa_reserve_vcc 1
		.amdhsa_reserve_flat_scratch 0
		.amdhsa_float_round_mode_32 0
		.amdhsa_float_round_mode_16_64 0
		.amdhsa_float_denorm_mode_32 3
		.amdhsa_float_denorm_mode_16_64 3
		.amdhsa_dx10_clamp 1
		.amdhsa_ieee_mode 1
		.amdhsa_fp16_overflow 0
		.amdhsa_exception_fp_ieee_invalid_op 0
		.amdhsa_exception_fp_denorm_src 0
		.amdhsa_exception_fp_ieee_div_zero 0
		.amdhsa_exception_fp_ieee_overflow 0
		.amdhsa_exception_fp_ieee_underflow 0
		.amdhsa_exception_fp_ieee_inexact 0
		.amdhsa_exception_int_div_zero 0
	.end_amdhsa_kernel
	.section	.text._ZN7rocprim17ROCPRIM_304000_NS6detail45device_block_merge_mergepath_partition_kernelINS1_37wrapped_merge_sort_block_merge_configINS0_14default_configEjN2at4cuda3cub6detail10OpaqueTypeILi8EEEEEPjjNS1_19radix_merge_compareILb1ELb0EjNS0_19identity_decomposerEEEEEvT0_T1_jPSH_T2_SH_,"axG",@progbits,_ZN7rocprim17ROCPRIM_304000_NS6detail45device_block_merge_mergepath_partition_kernelINS1_37wrapped_merge_sort_block_merge_configINS0_14default_configEjN2at4cuda3cub6detail10OpaqueTypeILi8EEEEEPjjNS1_19radix_merge_compareILb1ELb0EjNS0_19identity_decomposerEEEEEvT0_T1_jPSH_T2_SH_,comdat
.Lfunc_end2:
	.size	_ZN7rocprim17ROCPRIM_304000_NS6detail45device_block_merge_mergepath_partition_kernelINS1_37wrapped_merge_sort_block_merge_configINS0_14default_configEjN2at4cuda3cub6detail10OpaqueTypeILi8EEEEEPjjNS1_19radix_merge_compareILb1ELb0EjNS0_19identity_decomposerEEEEEvT0_T1_jPSH_T2_SH_, .Lfunc_end2-_ZN7rocprim17ROCPRIM_304000_NS6detail45device_block_merge_mergepath_partition_kernelINS1_37wrapped_merge_sort_block_merge_configINS0_14default_configEjN2at4cuda3cub6detail10OpaqueTypeILi8EEEEEPjjNS1_19radix_merge_compareILb1ELb0EjNS0_19identity_decomposerEEEEEvT0_T1_jPSH_T2_SH_
                                        ; -- End function
	.set _ZN7rocprim17ROCPRIM_304000_NS6detail45device_block_merge_mergepath_partition_kernelINS1_37wrapped_merge_sort_block_merge_configINS0_14default_configEjN2at4cuda3cub6detail10OpaqueTypeILi8EEEEEPjjNS1_19radix_merge_compareILb1ELb0EjNS0_19identity_decomposerEEEEEvT0_T1_jPSH_T2_SH_.num_vgpr, 17
	.set _ZN7rocprim17ROCPRIM_304000_NS6detail45device_block_merge_mergepath_partition_kernelINS1_37wrapped_merge_sort_block_merge_configINS0_14default_configEjN2at4cuda3cub6detail10OpaqueTypeILi8EEEEEPjjNS1_19radix_merge_compareILb1ELb0EjNS0_19identity_decomposerEEEEEvT0_T1_jPSH_T2_SH_.num_agpr, 0
	.set _ZN7rocprim17ROCPRIM_304000_NS6detail45device_block_merge_mergepath_partition_kernelINS1_37wrapped_merge_sort_block_merge_configINS0_14default_configEjN2at4cuda3cub6detail10OpaqueTypeILi8EEEEEPjjNS1_19radix_merge_compareILb1ELb0EjNS0_19identity_decomposerEEEEEvT0_T1_jPSH_T2_SH_.numbered_sgpr, 7
	.set _ZN7rocprim17ROCPRIM_304000_NS6detail45device_block_merge_mergepath_partition_kernelINS1_37wrapped_merge_sort_block_merge_configINS0_14default_configEjN2at4cuda3cub6detail10OpaqueTypeILi8EEEEEPjjNS1_19radix_merge_compareILb1ELb0EjNS0_19identity_decomposerEEEEEvT0_T1_jPSH_T2_SH_.num_named_barrier, 0
	.set _ZN7rocprim17ROCPRIM_304000_NS6detail45device_block_merge_mergepath_partition_kernelINS1_37wrapped_merge_sort_block_merge_configINS0_14default_configEjN2at4cuda3cub6detail10OpaqueTypeILi8EEEEEPjjNS1_19radix_merge_compareILb1ELb0EjNS0_19identity_decomposerEEEEEvT0_T1_jPSH_T2_SH_.private_seg_size, 0
	.set _ZN7rocprim17ROCPRIM_304000_NS6detail45device_block_merge_mergepath_partition_kernelINS1_37wrapped_merge_sort_block_merge_configINS0_14default_configEjN2at4cuda3cub6detail10OpaqueTypeILi8EEEEEPjjNS1_19radix_merge_compareILb1ELb0EjNS0_19identity_decomposerEEEEEvT0_T1_jPSH_T2_SH_.uses_vcc, 1
	.set _ZN7rocprim17ROCPRIM_304000_NS6detail45device_block_merge_mergepath_partition_kernelINS1_37wrapped_merge_sort_block_merge_configINS0_14default_configEjN2at4cuda3cub6detail10OpaqueTypeILi8EEEEEPjjNS1_19radix_merge_compareILb1ELb0EjNS0_19identity_decomposerEEEEEvT0_T1_jPSH_T2_SH_.uses_flat_scratch, 0
	.set _ZN7rocprim17ROCPRIM_304000_NS6detail45device_block_merge_mergepath_partition_kernelINS1_37wrapped_merge_sort_block_merge_configINS0_14default_configEjN2at4cuda3cub6detail10OpaqueTypeILi8EEEEEPjjNS1_19radix_merge_compareILb1ELb0EjNS0_19identity_decomposerEEEEEvT0_T1_jPSH_T2_SH_.has_dyn_sized_stack, 0
	.set _ZN7rocprim17ROCPRIM_304000_NS6detail45device_block_merge_mergepath_partition_kernelINS1_37wrapped_merge_sort_block_merge_configINS0_14default_configEjN2at4cuda3cub6detail10OpaqueTypeILi8EEEEEPjjNS1_19radix_merge_compareILb1ELb0EjNS0_19identity_decomposerEEEEEvT0_T1_jPSH_T2_SH_.has_recursion, 0
	.set _ZN7rocprim17ROCPRIM_304000_NS6detail45device_block_merge_mergepath_partition_kernelINS1_37wrapped_merge_sort_block_merge_configINS0_14default_configEjN2at4cuda3cub6detail10OpaqueTypeILi8EEEEEPjjNS1_19radix_merge_compareILb1ELb0EjNS0_19identity_decomposerEEEEEvT0_T1_jPSH_T2_SH_.has_indirect_call, 0
	.section	.AMDGPU.csdata,"",@progbits
; Kernel info:
; codeLenInByte = 364
; TotalNumSgprs: 11
; NumVgprs: 17
; ScratchSize: 0
; MemoryBound: 0
; FloatMode: 240
; IeeeMode: 1
; LDSByteSize: 0 bytes/workgroup (compile time only)
; SGPRBlocks: 1
; VGPRBlocks: 4
; NumSGPRsForWavesPerEU: 11
; NumVGPRsForWavesPerEU: 17
; Occupancy: 10
; WaveLimiterHint : 0
; COMPUTE_PGM_RSRC2:SCRATCH_EN: 0
; COMPUTE_PGM_RSRC2:USER_SGPR: 6
; COMPUTE_PGM_RSRC2:TRAP_HANDLER: 0
; COMPUTE_PGM_RSRC2:TGID_X_EN: 1
; COMPUTE_PGM_RSRC2:TGID_Y_EN: 0
; COMPUTE_PGM_RSRC2:TGID_Z_EN: 0
; COMPUTE_PGM_RSRC2:TIDIG_COMP_CNT: 0
	.section	.text._ZN7rocprim17ROCPRIM_304000_NS6detail35device_block_merge_mergepath_kernelINS1_37wrapped_merge_sort_block_merge_configINS0_14default_configEjN2at4cuda3cub6detail10OpaqueTypeILi8EEEEEPjSC_PSA_SD_jNS1_19radix_merge_compareILb1ELb0EjNS0_19identity_decomposerEEEEEvT0_T1_T2_T3_T4_SL_jT5_PKSL_NS1_7vsmem_tE,"axG",@progbits,_ZN7rocprim17ROCPRIM_304000_NS6detail35device_block_merge_mergepath_kernelINS1_37wrapped_merge_sort_block_merge_configINS0_14default_configEjN2at4cuda3cub6detail10OpaqueTypeILi8EEEEEPjSC_PSA_SD_jNS1_19radix_merge_compareILb1ELb0EjNS0_19identity_decomposerEEEEEvT0_T1_T2_T3_T4_SL_jT5_PKSL_NS1_7vsmem_tE,comdat
	.protected	_ZN7rocprim17ROCPRIM_304000_NS6detail35device_block_merge_mergepath_kernelINS1_37wrapped_merge_sort_block_merge_configINS0_14default_configEjN2at4cuda3cub6detail10OpaqueTypeILi8EEEEEPjSC_PSA_SD_jNS1_19radix_merge_compareILb1ELb0EjNS0_19identity_decomposerEEEEEvT0_T1_T2_T3_T4_SL_jT5_PKSL_NS1_7vsmem_tE ; -- Begin function _ZN7rocprim17ROCPRIM_304000_NS6detail35device_block_merge_mergepath_kernelINS1_37wrapped_merge_sort_block_merge_configINS0_14default_configEjN2at4cuda3cub6detail10OpaqueTypeILi8EEEEEPjSC_PSA_SD_jNS1_19radix_merge_compareILb1ELb0EjNS0_19identity_decomposerEEEEEvT0_T1_T2_T3_T4_SL_jT5_PKSL_NS1_7vsmem_tE
	.globl	_ZN7rocprim17ROCPRIM_304000_NS6detail35device_block_merge_mergepath_kernelINS1_37wrapped_merge_sort_block_merge_configINS0_14default_configEjN2at4cuda3cub6detail10OpaqueTypeILi8EEEEEPjSC_PSA_SD_jNS1_19radix_merge_compareILb1ELb0EjNS0_19identity_decomposerEEEEEvT0_T1_T2_T3_T4_SL_jT5_PKSL_NS1_7vsmem_tE
	.p2align	8
	.type	_ZN7rocprim17ROCPRIM_304000_NS6detail35device_block_merge_mergepath_kernelINS1_37wrapped_merge_sort_block_merge_configINS0_14default_configEjN2at4cuda3cub6detail10OpaqueTypeILi8EEEEEPjSC_PSA_SD_jNS1_19radix_merge_compareILb1ELb0EjNS0_19identity_decomposerEEEEEvT0_T1_T2_T3_T4_SL_jT5_PKSL_NS1_7vsmem_tE,@function
_ZN7rocprim17ROCPRIM_304000_NS6detail35device_block_merge_mergepath_kernelINS1_37wrapped_merge_sort_block_merge_configINS0_14default_configEjN2at4cuda3cub6detail10OpaqueTypeILi8EEEEEPjSC_PSA_SD_jNS1_19radix_merge_compareILb1ELb0EjNS0_19identity_decomposerEEEEEvT0_T1_T2_T3_T4_SL_jT5_PKSL_NS1_7vsmem_tE: ; @_ZN7rocprim17ROCPRIM_304000_NS6detail35device_block_merge_mergepath_kernelINS1_37wrapped_merge_sort_block_merge_configINS0_14default_configEjN2at4cuda3cub6detail10OpaqueTypeILi8EEEEEPjSC_PSA_SD_jNS1_19radix_merge_compareILb1ELb0EjNS0_19identity_decomposerEEEEEvT0_T1_T2_T3_T4_SL_jT5_PKSL_NS1_7vsmem_tE
; %bb.0:
	s_load_dwordx2 s[26:27], s[4:5], 0x40
	s_load_dwordx4 s[16:19], s[4:5], 0x20
	s_add_u32 s2, s4, 64
	s_addc_u32 s3, s5, 0
	s_waitcnt lgkmcnt(0)
	s_mul_i32 s0, s27, s8
	s_add_i32 s0, s0, s7
	s_mul_i32 s0, s0, s26
	s_add_i32 s0, s0, s6
	s_cmp_ge_u32 s0, s18
	s_cbranch_scc1 .LBB3_69
; %bb.1:
	s_load_dwordx8 s[8:15], s[4:5], 0x0
	s_load_dwordx2 s[18:19], s[4:5], 0x30
	s_lshr_b32 s27, s16, 9
	s_cmp_lg_u32 s0, s27
	s_mov_b32 s1, 0
	s_cselect_b64 s[20:21], -1, 0
	s_lshl_b64 s[4:5], s[0:1], 2
	s_waitcnt lgkmcnt(0)
	s_add_u32 s4, s18, s4
	s_addc_u32 s5, s19, s5
	s_load_dwordx2 s[22:23], s[4:5], 0x0
	s_lshr_b32 s4, s17, 8
	s_and_b32 s4, s4, 0xfffffe
	s_sub_i32 s4, 0, s4
	s_and_b32 s5, s0, s4
	s_lshl_b32 s7, s5, 9
	s_lshl_b32 s18, s0, 9
	;; [unrolled: 1-line block ×3, first 2 shown]
	s_sub_i32 s19, s18, s7
	s_add_i32 s5, s5, s17
	s_add_i32 s19, s5, s19
	s_waitcnt lgkmcnt(0)
	s_sub_i32 s24, s19, s22
	s_sub_i32 s19, s19, s23
	;; [unrolled: 1-line block ×3, first 2 shown]
	s_min_u32 s24, s16, s24
	s_addk_i32 s19, 0x200
	s_or_b32 s4, s0, s4
	s_min_u32 s7, s16, s5
	s_add_i32 s5, s5, s17
	s_cmp_eq_u32 s4, -1
	s_cselect_b32 s4, s5, s19
	s_cselect_b32 s5, s7, s23
	s_min_u32 s4, s4, s16
	s_mov_b32 s23, s1
	s_sub_i32 s19, s5, s22
	s_sub_i32 s28, s4, s24
	s_lshl_b64 s[30:31], s[22:23], 2
	s_add_u32 s5, s8, s30
	s_mov_b32 s25, s1
	s_addc_u32 s7, s9, s31
	s_lshl_b64 s[30:31], s[24:25], 2
	s_add_u32 s4, s8, s30
	v_mov_b32_e32 v6, 0
	global_load_dword v1, v6, s[2:3] offset:14
	s_addc_u32 s8, s9, s31
	s_cmp_lt_u32 s6, s26
	s_cselect_b32 s1, 12, 18
	s_add_u32 s2, s2, s1
	s_addc_u32 s3, s3, 0
	global_load_ushort v2, v6, s[2:3]
	s_cmp_eq_u32 s0, s27
	v_cmp_gt_u32_e32 vcc, s19, v0
	v_lshlrev_b32_e32 v9, 2, v0
	s_waitcnt vmcnt(1)
	v_lshrrev_b32_e32 v3, 16, v1
	v_and_b32_e32 v1, 0xffff, v1
	v_mul_lo_u32 v1, v1, v3
	s_waitcnt vmcnt(0)
	v_mul_lo_u32 v7, v1, v2
	v_add_u32_e32 v5, v7, v0
	s_cbranch_scc1 .LBB3_3
; %bb.2:
	v_mov_b32_e32 v1, s7
	v_add_co_u32_e64 v3, s[0:1], s5, v9
	v_subrev_u32_e32 v2, s19, v0
	v_addc_co_u32_e64 v1, s[0:1], 0, v1, s[0:1]
	v_lshlrev_b32_e32 v2, 2, v2
	v_mov_b32_e32 v4, s8
	v_add_co_u32_e64 v8, s[0:1], s4, v2
	v_addc_co_u32_e64 v2, s[0:1], 0, v4, s[0:1]
	v_cndmask_b32_e32 v2, v2, v1, vcc
	v_cndmask_b32_e32 v1, v8, v3, vcc
	global_load_dword v1, v[1:2], off
	v_lshlrev_b64 v[2:3], 2, v[5:6]
	v_mov_b32_e32 v4, s7
	v_add_co_u32_e32 v8, vcc, s5, v2
	v_addc_co_u32_e32 v4, vcc, v4, v3, vcc
	v_subrev_co_u32_e32 v2, vcc, s19, v5
	v_mov_b32_e32 v3, v6
	v_lshlrev_b64 v[2:3], 2, v[2:3]
	v_mov_b32_e32 v10, s8
	v_add_co_u32_e64 v2, s[0:1], s4, v2
	v_addc_co_u32_e64 v3, s[0:1], v10, v3, s[0:1]
	v_cndmask_b32_e32 v3, v3, v4, vcc
	v_cndmask_b32_e32 v2, v2, v8, vcc
	v_add_u32_e32 v10, v5, v7
	v_mov_b32_e32 v11, v6
	global_load_dword v2, v[2:3], off
	v_lshlrev_b64 v[3:4], 2, v[10:11]
	v_mov_b32_e32 v8, s7
	v_add_co_u32_e32 v11, vcc, s5, v3
	v_addc_co_u32_e32 v8, vcc, v8, v4, vcc
	v_subrev_co_u32_e32 v3, vcc, s19, v10
	v_mov_b32_e32 v4, v6
	v_lshlrev_b64 v[3:4], 2, v[3:4]
	v_mov_b32_e32 v12, s8
	v_add_co_u32_e64 v3, s[0:1], s4, v3
	v_cndmask_b32_e32 v3, v3, v11, vcc
	v_add_u32_e32 v10, v10, v7
	v_mov_b32_e32 v11, v6
	v_addc_co_u32_e64 v4, s[0:1], v12, v4, s[0:1]
	v_lshlrev_b64 v[11:12], 2, v[10:11]
	v_cndmask_b32_e32 v4, v4, v8, vcc
	global_load_dword v3, v[3:4], off
	v_mov_b32_e32 v4, s7
	v_add_co_u32_e32 v8, vcc, s5, v11
	v_addc_co_u32_e32 v4, vcc, v4, v12, vcc
	v_subrev_co_u32_e32 v10, vcc, s19, v10
	v_mov_b32_e32 v11, v6
	v_lshlrev_b64 v[10:11], 2, v[10:11]
	v_mov_b32_e32 v6, s8
	v_add_co_u32_e64 v10, s[0:1], s4, v10
	v_addc_co_u32_e64 v6, s[0:1], v6, v11, s[0:1]
	v_cndmask_b32_e32 v11, v6, v4, vcc
	v_cndmask_b32_e32 v10, v10, v8, vcc
	global_load_dword v4, v[10:11], off
	s_add_i32 s17, s28, s19
	s_cbranch_execz .LBB3_4
	s_branch .LBB3_13
.LBB3_3:
                                        ; implicit-def: $vgpr1_vgpr2_vgpr3_vgpr4
                                        ; implicit-def: $sgpr17
.LBB3_4:
	s_add_i32 s17, s28, s19
	s_waitcnt vmcnt(3)
	v_mov_b32_e32 v1, 0
	v_cmp_gt_u32_e32 vcc, s17, v0
	s_waitcnt vmcnt(2)
	v_mov_b32_e32 v2, v1
	s_waitcnt vmcnt(1)
	v_mov_b32_e32 v3, v1
	;; [unrolled: 2-line block ×3, first 2 shown]
	s_and_saveexec_b64 s[0:1], vcc
	s_cbranch_execz .LBB3_6
; %bb.5:
	v_mov_b32_e32 v2, s7
	v_add_co_u32_e32 v4, vcc, s5, v9
	v_subrev_u32_e32 v3, s19, v0
	v_addc_co_u32_e32 v2, vcc, 0, v2, vcc
	v_lshlrev_b32_e32 v3, 2, v3
	v_mov_b32_e32 v6, s8
	v_add_co_u32_e32 v8, vcc, s4, v3
	v_addc_co_u32_e32 v3, vcc, 0, v6, vcc
	v_cmp_gt_u32_e32 vcc, s19, v0
	v_cndmask_b32_e32 v3, v3, v2, vcc
	v_cndmask_b32_e32 v2, v8, v4, vcc
	global_load_dword v10, v[2:3], off
	v_mov_b32_e32 v11, v1
	v_mov_b32_e32 v12, v1
	;; [unrolled: 1-line block ×3, first 2 shown]
	s_waitcnt vmcnt(0)
	v_mov_b32_e32 v1, v10
	v_mov_b32_e32 v2, v11
	;; [unrolled: 1-line block ×4, first 2 shown]
.LBB3_6:
	s_or_b64 exec, exec, s[0:1]
	v_cmp_gt_u32_e32 vcc, s17, v5
	s_and_saveexec_b64 s[2:3], vcc
	s_cbranch_execz .LBB3_8
; %bb.7:
	v_mov_b32_e32 v6, 0
	v_lshlrev_b64 v[10:11], 2, v[5:6]
	v_mov_b32_e32 v2, s7
	v_add_co_u32_e32 v8, vcc, s5, v10
	v_addc_co_u32_e32 v2, vcc, v2, v11, vcc
	v_subrev_co_u32_e32 v10, vcc, s19, v5
	v_mov_b32_e32 v11, v6
	v_lshlrev_b64 v[10:11], 2, v[10:11]
	v_mov_b32_e32 v6, s8
	v_add_co_u32_e64 v10, s[0:1], s4, v10
	v_addc_co_u32_e64 v6, s[0:1], v6, v11, s[0:1]
	v_cndmask_b32_e32 v11, v6, v2, vcc
	v_cndmask_b32_e32 v10, v10, v8, vcc
	global_load_dword v2, v[10:11], off
.LBB3_8:
	s_or_b64 exec, exec, s[2:3]
	v_add_u32_e32 v5, v5, v7
	v_cmp_gt_u32_e32 vcc, s17, v5
	s_and_saveexec_b64 s[2:3], vcc
	s_cbranch_execz .LBB3_10
; %bb.9:
	v_mov_b32_e32 v6, 0
	v_lshlrev_b64 v[10:11], 2, v[5:6]
	v_mov_b32_e32 v3, s7
	v_add_co_u32_e32 v8, vcc, s5, v10
	v_addc_co_u32_e32 v3, vcc, v3, v11, vcc
	v_subrev_co_u32_e32 v10, vcc, s19, v5
	v_mov_b32_e32 v11, v6
	v_lshlrev_b64 v[10:11], 2, v[10:11]
	v_mov_b32_e32 v6, s8
	v_add_co_u32_e64 v10, s[0:1], s4, v10
	v_addc_co_u32_e64 v6, s[0:1], v6, v11, s[0:1]
	v_cndmask_b32_e32 v11, v6, v3, vcc
	v_cndmask_b32_e32 v10, v10, v8, vcc
	global_load_dword v3, v[10:11], off
.LBB3_10:
	s_or_b64 exec, exec, s[2:3]
	v_add_u32_e32 v5, v5, v7
	v_cmp_gt_u32_e32 vcc, s17, v5
	s_and_saveexec_b64 s[2:3], vcc
	s_cbranch_execz .LBB3_12
; %bb.11:
	v_mov_b32_e32 v6, 0
	v_lshlrev_b64 v[7:8], 2, v[5:6]
	v_mov_b32_e32 v4, s7
	v_add_co_u32_e32 v7, vcc, s5, v7
	v_addc_co_u32_e32 v8, vcc, v4, v8, vcc
	v_subrev_co_u32_e32 v5, vcc, s19, v5
	v_lshlrev_b64 v[4:5], 2, v[5:6]
	v_mov_b32_e32 v6, s8
	v_add_co_u32_e64 v4, s[0:1], s4, v4
	v_addc_co_u32_e64 v5, s[0:1], v6, v5, s[0:1]
	v_cndmask_b32_e32 v5, v5, v8, vcc
	v_cndmask_b32_e32 v4, v4, v7, vcc
	global_load_dword v4, v[4:5], off
.LBB3_12:
	s_or_b64 exec, exec, s[2:3]
.LBB3_13:
	v_min_u32_e32 v6, s17, v9
	v_sub_u32_e64 v5, v6, s28 clamp
	v_min_u32_e32 v7, s19, v6
	v_cmp_lt_u32_e32 vcc, v5, v7
	s_waitcnt vmcnt(0)
	ds_write2st64_b32 v9, v1, v2 offset1:2
	ds_write2st64_b32 v9, v3, v4 offset0:4 offset1:6
	s_waitcnt lgkmcnt(0)
	s_barrier
	s_and_saveexec_b64 s[0:1], vcc
	s_cbranch_execz .LBB3_17
; %bb.14:
	v_lshlrev_b32_e32 v8, 2, v6
	v_lshl_add_u32 v8, s19, 2, v8
	s_mov_b64 s[2:3], 0
.LBB3_15:                               ; =>This Inner Loop Header: Depth=1
	v_add_u32_e32 v10, v7, v5
	v_lshrrev_b32_e32 v10, 1, v10
	v_not_b32_e32 v11, v10
	v_lshlrev_b32_e32 v12, 2, v10
	v_lshl_add_u32 v11, v11, 2, v8
	ds_read_b32 v12, v12
	ds_read_b32 v11, v11
	v_add_u32_e32 v13, 1, v10
	s_waitcnt lgkmcnt(0)
	v_cmp_gt_u32_e32 vcc, v11, v12
	v_cndmask_b32_e32 v7, v7, v10, vcc
	v_cndmask_b32_e32 v5, v13, v5, vcc
	v_cmp_ge_u32_e32 vcc, v5, v7
	s_or_b64 s[2:3], vcc, s[2:3]
	s_andn2_b64 exec, exec, s[2:3]
	s_cbranch_execnz .LBB3_15
; %bb.16:
	s_or_b64 exec, exec, s[2:3]
.LBB3_17:
	s_or_b64 exec, exec, s[0:1]
	v_sub_u32_e32 v6, v6, v5
	v_add_u32_e32 v6, s19, v6
	v_cmp_ge_u32_e32 vcc, s19, v5
	v_cmp_ge_u32_e64 s[0:1], s17, v6
	s_or_b64 s[0:1], vcc, s[0:1]
	v_mov_b32_e32 v10, 0
	v_mov_b32_e32 v11, 0
	;; [unrolled: 1-line block ×4, first 2 shown]
	s_and_saveexec_b64 s[8:9], s[0:1]
	s_cbranch_execz .LBB3_23
; %bb.18:
	v_cmp_gt_u32_e32 vcc, s19, v5
                                        ; implicit-def: $vgpr1
	s_and_saveexec_b64 s[0:1], vcc
; %bb.19:
	v_lshlrev_b32_e32 v1, 2, v5
	ds_read_b32 v1, v1
; %bb.20:
	s_or_b64 exec, exec, s[0:1]
	v_cmp_le_u32_e64 s[0:1], s17, v6
	v_cmp_gt_u32_e64 s[2:3], s17, v6
                                        ; implicit-def: $vgpr2
	s_and_saveexec_b64 s[4:5], s[2:3]
; %bb.21:
	v_lshlrev_b32_e32 v2, 2, v6
	ds_read_b32 v2, v2
; %bb.22:
	s_or_b64 exec, exec, s[4:5]
	s_waitcnt lgkmcnt(0)
	v_cmp_le_u32_e64 s[2:3], v2, v1
	s_and_b64 s[2:3], vcc, s[2:3]
	s_or_b64 vcc, s[0:1], s[2:3]
	v_mov_b32_e32 v3, s17
	v_mov_b32_e32 v4, s19
	v_cndmask_b32_e32 v13, v6, v5, vcc
	v_cndmask_b32_e32 v7, v3, v4, vcc
	v_add_u32_e32 v8, 1, v13
	v_add_u32_e32 v7, -1, v7
	v_min_u32_e32 v7, v8, v7
	v_lshlrev_b32_e32 v7, 2, v7
	ds_read_b32 v7, v7
	v_cndmask_b32_e32 v5, v5, v8, vcc
	v_cndmask_b32_e32 v6, v8, v6, vcc
	v_cmp_gt_u32_e64 s[2:3], s19, v5
	v_cmp_le_u32_e64 s[0:1], s17, v6
	s_waitcnt lgkmcnt(0)
	v_cndmask_b32_e32 v10, v7, v2, vcc
	v_cndmask_b32_e32 v7, v1, v7, vcc
	v_cmp_le_u32_e64 s[4:5], v10, v7
	s_and_b64 s[2:3], s[2:3], s[4:5]
	s_or_b64 s[0:1], s[0:1], s[2:3]
	v_cndmask_b32_e64 v12, v6, v5, s[0:1]
	v_cndmask_b32_e64 v8, v3, v4, s[0:1]
	v_add_u32_e32 v11, 1, v12
	v_add_u32_e32 v8, -1, v8
	v_min_u32_e32 v8, v11, v8
	v_lshlrev_b32_e32 v8, 2, v8
	ds_read_b32 v8, v8
	v_cndmask_b32_e64 v5, v5, v11, s[0:1]
	v_cndmask_b32_e64 v6, v11, v6, s[0:1]
	v_cmp_gt_u32_e64 s[4:5], s19, v5
	v_cmp_le_u32_e64 s[2:3], s17, v6
	s_waitcnt lgkmcnt(0)
	v_cndmask_b32_e64 v14, v8, v10, s[0:1]
	v_cndmask_b32_e64 v8, v7, v8, s[0:1]
	v_cmp_le_u32_e64 s[6:7], v14, v8
	s_and_b64 s[4:5], s[4:5], s[6:7]
	s_or_b64 s[2:3], s[2:3], s[4:5]
	v_cndmask_b32_e64 v11, v6, v5, s[2:3]
	v_cndmask_b32_e64 v3, v3, v4, s[2:3]
	v_add_u32_e32 v4, 1, v11
	v_add_u32_e32 v3, -1, v3
	v_min_u32_e32 v3, v4, v3
	v_lshlrev_b32_e32 v3, 2, v3
	ds_read_b32 v15, v3
	v_cndmask_b32_e32 v1, v2, v1, vcc
	v_cndmask_b32_e64 v2, v10, v7, s[0:1]
	v_cndmask_b32_e64 v3, v14, v8, s[2:3]
	;; [unrolled: 1-line block ×3, first 2 shown]
	s_waitcnt lgkmcnt(0)
	v_cndmask_b32_e64 v7, v15, v14, s[2:3]
	v_cndmask_b32_e64 v8, v8, v15, s[2:3]
	;; [unrolled: 1-line block ×3, first 2 shown]
	v_cmp_gt_u32_e64 s[0:1], s19, v4
	v_cmp_le_u32_e64 s[2:3], v7, v8
	v_cmp_le_u32_e32 vcc, s17, v6
	s_and_b64 s[0:1], s[0:1], s[2:3]
	s_or_b64 vcc, vcc, s[0:1]
	v_cndmask_b32_e32 v10, v6, v4, vcc
	v_cndmask_b32_e32 v4, v7, v8, vcc
.LBB3_23:
	s_or_b64 exec, exec, s[8:9]
	s_lshl_b64 s[0:1], s[22:23], 3
	s_add_u32 s8, s12, s0
	s_addc_u32 s9, s13, s1
	s_lshl_b64 s[0:1], s[24:25], 3
	s_add_u32 s6, s12, s0
	v_cndmask_b32_e64 v5, 0, 1, s[20:21]
	s_addc_u32 s7, s13, s1
	v_cmp_gt_u32_e64 s[4:5], s19, v0
	v_cmp_ne_u32_e64 s[0:1], 1, v5
	s_andn2_b64 vcc, exec, s[20:21]
	v_cmp_le_u32_e64 s[2:3], s19, v0
	s_barrier
	s_cbranch_vccnz .LBB3_25
; %bb.24:
	v_lshlrev_b32_e32 v8, 3, v0
	v_mov_b32_e32 v5, s9
	v_add_co_u32_e32 v7, vcc, s8, v8
	v_subrev_u32_e32 v6, s19, v0
	v_addc_co_u32_e32 v5, vcc, 0, v5, vcc
	v_lshlrev_b32_e32 v6, 3, v6
	v_mov_b32_e32 v14, s7
	v_add_co_u32_e32 v15, vcc, s6, v6
	v_addc_co_u32_e32 v6, vcc, 0, v14, vcc
	v_cndmask_b32_e64 v6, v6, v5, s[4:5]
	v_cndmask_b32_e64 v5, v15, v7, s[4:5]
	global_load_dwordx2 v[15:16], v[5:6], off
	v_or_b32_e32 v5, 0x80, v0
	v_subrev_u32_e32 v6, s19, v5
	v_min_u32_e32 v6, v5, v6
	v_cmp_gt_u32_e32 vcc, s19, v5
	v_mov_b32_e32 v22, s6
	v_mov_b32_e32 v23, s8
	;; [unrolled: 1-line block ×4, first 2 shown]
	v_cndmask_b32_e32 v5, v22, v23, vcc
	v_lshlrev_b32_e32 v6, 3, v6
	v_cndmask_b32_e32 v14, v7, v21, vcc
	v_add_co_u32_e32 v5, vcc, v5, v6
	v_addc_co_u32_e32 v6, vcc, 0, v14, vcc
	global_load_dwordx2 v[17:18], v[5:6], off
	v_or_b32_e32 v5, 0x100, v0
	v_subrev_u32_e32 v6, s19, v5
	v_min_u32_e32 v6, v5, v6
	v_cmp_gt_u32_e32 vcc, s19, v5
	v_cndmask_b32_e32 v5, v22, v23, vcc
	v_lshlrev_b32_e32 v6, 3, v6
	v_cndmask_b32_e32 v14, v7, v21, vcc
	v_add_co_u32_e32 v5, vcc, v5, v6
	v_addc_co_u32_e32 v6, vcc, 0, v14, vcc
	global_load_dwordx2 v[19:20], v[5:6], off
	v_or_b32_e32 v14, 0x180, v0
	v_subrev_u32_e32 v5, s19, v14
	v_cmp_gt_u32_e32 vcc, s19, v14
	v_cndmask_b32_e32 v6, v7, v21, vcc
	v_min_u32_e32 v7, v14, v5
	v_cndmask_b32_e32 v5, v22, v23, vcc
	s_mov_b64 s[4:5], -1
	s_waitcnt vmcnt(1)
	ds_write2st64_b64 v8, v[15:16], v[17:18] offset1:2
	s_waitcnt vmcnt(0)
	ds_write_b64 v8, v[19:20] offset:2048
	s_cbranch_execz .LBB3_26
	s_branch .LBB3_43
.LBB3_25:
	s_mov_b64 s[4:5], 0
                                        ; implicit-def: $vgpr14
                                        ; implicit-def: $vgpr5_vgpr6
                                        ; implicit-def: $vgpr7
.LBB3_26:
	s_and_saveexec_b64 s[4:5], s[2:3]
	s_xor_b64 s[2:3], exec, s[4:5]
	s_cbranch_execz .LBB3_30
; %bb.27:
	v_subrev_u32_e32 v5, s19, v0
	v_cmp_gt_u32_e32 vcc, s28, v5
	s_and_saveexec_b64 s[4:5], vcc
	s_cbranch_execz .LBB3_29
; %bb.28:
	v_lshlrev_b32_e32 v5, 3, v5
	global_load_dwordx2 v[5:6], v5, s[6:7]
	v_add_u32_e32 v7, v9, v9
	s_waitcnt vmcnt(0)
	ds_write_b64 v7, v[5:6]
.LBB3_29:
	s_or_b64 exec, exec, s[4:5]
.LBB3_30:
	s_or_saveexec_b64 s[2:3], s[2:3]
	v_add_u32_e32 v7, v9, v9
	s_xor_b64 exec, exec, s[2:3]
	s_cbranch_execz .LBB3_32
; %bb.31:
	v_lshlrev_b32_e32 v5, 3, v0
	global_load_dwordx2 v[5:6], v5, s[8:9]
	s_waitcnt vmcnt(0)
	ds_write_b64 v7, v[5:6]
.LBB3_32:
	s_or_b64 exec, exec, s[2:3]
	v_or_b32_e32 v8, 0x80, v0
	v_mov_b32_e32 v5, s22
	v_cmp_le_u32_e32 vcc, s19, v8
	s_mov_b64 s[2:3], -1
	v_mov_b32_e32 v6, s23
	s_and_saveexec_b64 s[4:5], vcc
; %bb.33:
	v_subrev_u32_e32 v8, s19, v8
	v_cmp_gt_u32_e32 vcc, s28, v8
	v_mov_b32_e32 v5, s24
	v_mov_b32_e32 v6, s25
	s_orn2_b64 s[2:3], vcc, exec
; %bb.34:
	s_or_b64 exec, exec, s[4:5]
	s_and_saveexec_b64 s[4:5], s[2:3]
	s_cbranch_execz .LBB3_36
; %bb.35:
	v_lshlrev_b64 v[5:6], 3, v[5:6]
	v_mov_b32_e32 v14, s13
	v_add_co_u32_e32 v5, vcc, s12, v5
	v_addc_co_u32_e32 v6, vcc, v14, v6, vcc
	v_lshlrev_b32_e32 v8, 3, v8
	v_add_co_u32_e32 v5, vcc, v5, v8
	v_addc_co_u32_e32 v6, vcc, 0, v6, vcc
	global_load_dwordx2 v[5:6], v[5:6], off
	s_waitcnt vmcnt(0)
	ds_write_b64 v7, v[5:6] offset:1024
.LBB3_36:
	s_or_b64 exec, exec, s[4:5]
	v_or_b32_e32 v8, 0x100, v0
	v_mov_b32_e32 v5, s22
	v_cmp_le_u32_e32 vcc, s19, v8
	s_mov_b64 s[2:3], -1
	v_mov_b32_e32 v6, s23
	s_and_saveexec_b64 s[4:5], vcc
; %bb.37:
	v_subrev_u32_e32 v8, s19, v8
	v_cmp_gt_u32_e32 vcc, s28, v8
	v_mov_b32_e32 v5, s24
	v_mov_b32_e32 v6, s25
	s_orn2_b64 s[2:3], vcc, exec
; %bb.38:
	s_or_b64 exec, exec, s[4:5]
	s_and_saveexec_b64 s[4:5], s[2:3]
	s_cbranch_execz .LBB3_40
; %bb.39:
	v_lshlrev_b64 v[5:6], 3, v[5:6]
	v_mov_b32_e32 v14, s13
	v_add_co_u32_e32 v5, vcc, s12, v5
	v_addc_co_u32_e32 v6, vcc, v14, v6, vcc
	v_lshlrev_b32_e32 v8, 3, v8
	v_add_co_u32_e32 v5, vcc, v5, v8
	v_addc_co_u32_e32 v6, vcc, 0, v6, vcc
	global_load_dwordx2 v[5:6], v[5:6], off
	s_waitcnt vmcnt(0)
	ds_write_b64 v7, v[5:6] offset:2048
.LBB3_40:
	s_or_b64 exec, exec, s[4:5]
	v_or_b32_e32 v14, 0x180, v0
	v_mov_b32_e32 v5, s8
	v_cmp_le_u32_e32 vcc, s19, v14
	s_mov_b64 s[4:5], -1
	v_mov_b32_e32 v6, s9
	v_mov_b32_e32 v7, v14
	s_and_saveexec_b64 s[2:3], vcc
; %bb.41:
	v_subrev_u32_e32 v7, s19, v14
	v_cmp_gt_u32_e32 vcc, s28, v7
	v_mov_b32_e32 v5, s6
	v_mov_b32_e32 v6, s7
	s_orn2_b64 s[4:5], vcc, exec
; %bb.42:
	s_or_b64 exec, exec, s[2:3]
.LBB3_43:
	s_and_saveexec_b64 s[2:3], s[4:5]
	s_cbranch_execz .LBB3_45
; %bb.44:
	v_mov_b32_e32 v8, 0
	v_lshlrev_b64 v[7:8], 3, v[7:8]
	v_add_co_u32_e32 v5, vcc, v5, v7
	v_addc_co_u32_e32 v6, vcc, v6, v8, vcc
	global_load_dwordx2 v[5:6], v[5:6], off
	v_lshlrev_b32_e32 v7, 3, v14
	s_waitcnt vmcnt(0)
	ds_write_b64 v7, v[5:6]
.LBB3_45:
	s_or_b64 exec, exec, s[2:3]
	s_and_b64 vcc, exec, s[0:1]
	v_add_u32_e32 v5, s18, v9
	s_waitcnt lgkmcnt(0)
	s_barrier
	s_cbranch_vccnz .LBB3_47
; %bb.46:
	v_lshlrev_b32_e32 v14, 3, v13
	v_lshlrev_b32_e32 v16, 3, v12
	;; [unrolled: 1-line block ×3, first 2 shown]
	v_mov_b32_e32 v6, 0
	ds_read_b64 v[14:15], v14
	ds_read_b64 v[16:17], v16
	;; [unrolled: 1-line block ×3, first 2 shown]
	v_lshlrev_b64 v[7:8], 3, v[5:6]
	v_mov_b32_e32 v20, s15
	v_add_co_u32_e32 v7, vcc, s14, v7
	v_addc_co_u32_e32 v8, vcc, v20, v8, vcc
	s_mov_b64 s[0:1], -1
	s_waitcnt lgkmcnt(1)
	global_store_dwordx4 v[7:8], v[14:17], off
	s_waitcnt lgkmcnt(0)
	global_store_dwordx2 v[7:8], v[18:19], off offset:16
	s_cbranch_execz .LBB3_48
	s_branch .LBB3_57
.LBB3_47:
	s_mov_b64 s[0:1], 0
.LBB3_48:
	v_cmp_gt_u32_e32 vcc, s17, v9
	s_and_saveexec_b64 s[2:3], vcc
	s_cbranch_execz .LBB3_50
; %bb.49:
	v_lshlrev_b32_e32 v8, 3, v13
	v_mov_b32_e32 v6, 0
	ds_read_b64 v[13:14], v8
	v_lshlrev_b64 v[6:7], 3, v[5:6]
	v_mov_b32_e32 v15, s15
	v_add_co_u32_e32 v6, vcc, s14, v6
	v_addc_co_u32_e32 v7, vcc, v15, v7, vcc
	s_waitcnt lgkmcnt(0)
	global_store_dwordx2 v[6:7], v[13:14], off
.LBB3_50:
	s_or_b64 exec, exec, s[2:3]
	v_or_b32_e32 v6, 1, v9
	v_cmp_gt_u32_e32 vcc, s17, v6
	s_and_saveexec_b64 s[2:3], vcc
	s_cbranch_execz .LBB3_52
; %bb.51:
	v_lshlrev_b32_e32 v8, 3, v12
	v_mov_b32_e32 v6, 0
	ds_read_b64 v[12:13], v8
	v_lshlrev_b64 v[6:7], 3, v[5:6]
	v_mov_b32_e32 v14, s15
	v_add_co_u32_e32 v6, vcc, s14, v6
	v_addc_co_u32_e32 v7, vcc, v14, v7, vcc
	s_waitcnt lgkmcnt(0)
	global_store_dwordx2 v[6:7], v[12:13], off offset:8
.LBB3_52:
	s_or_b64 exec, exec, s[2:3]
	v_or_b32_e32 v6, 2, v9
	v_cmp_gt_u32_e32 vcc, s17, v6
	s_and_saveexec_b64 s[2:3], vcc
	s_cbranch_execz .LBB3_54
; %bb.53:
	v_lshlrev_b32_e32 v8, 3, v11
	v_mov_b32_e32 v6, 0
	ds_read_b64 v[11:12], v8
	v_lshlrev_b64 v[6:7], 3, v[5:6]
	v_mov_b32_e32 v13, s15
	v_add_co_u32_e32 v6, vcc, s14, v6
	v_addc_co_u32_e32 v7, vcc, v13, v7, vcc
	s_waitcnt lgkmcnt(0)
	global_store_dwordx2 v[6:7], v[11:12], off offset:16
.LBB3_54:
	s_or_b64 exec, exec, s[2:3]
	v_or_b32_e32 v6, 3, v9
	v_cmp_gt_u32_e32 vcc, s17, v6
	s_and_saveexec_b64 s[2:3], vcc
; %bb.55:
	v_mov_b32_e32 v6, 0
	s_or_b64 s[0:1], s[0:1], exec
; %bb.56:
	s_or_b64 exec, exec, s[2:3]
.LBB3_57:
	s_and_saveexec_b64 s[2:3], s[0:1]
	s_cbranch_execz .LBB3_59
; %bb.58:
	v_lshlrev_b32_e32 v7, 3, v10
	ds_read_b64 v[7:8], v7
	v_lshlrev_b64 v[5:6], 3, v[5:6]
	v_mov_b32_e32 v10, s15
	v_add_co_u32_e32 v5, vcc, s14, v5
	v_addc_co_u32_e32 v6, vcc, v10, v6, vcc
	s_waitcnt lgkmcnt(0)
	global_store_dwordx2 v[5:6], v[7:8], off offset:24
.LBB3_59:
	s_or_b64 exec, exec, s[2:3]
	v_lshrrev_b32_e32 v5, 3, v0
	v_lshlrev_b32_e32 v6, 2, v9
	v_lshl_add_u32 v6, v5, 2, v6
	s_waitcnt vmcnt(0)
	s_barrier
	s_barrier
	ds_write2_b32 v6, v1, v2 offset1:1
	ds_write2_b32 v6, v3, v4 offset0:2 offset1:3
	v_and_b32_e32 v1, 12, v5
	v_or_b32_e32 v5, 0x80, v0
	v_add_u32_e32 v7, v1, v9
	v_lshrrev_b32_e32 v1, 3, v5
	v_and_b32_e32 v1, 28, v1
	v_or_b32_e32 v4, 0x100, v0
	s_mov_b32 s19, 0
	v_add_u32_e32 v8, v1, v9
	v_lshrrev_b32_e32 v1, 3, v4
	s_lshl_b64 s[0:1], s[18:19], 2
	v_and_b32_e32 v1, 44, v1
	v_or_b32_e32 v3, 0x180, v0
	s_add_u32 s0, s10, s0
	v_add_u32_e32 v10, v1, v9
	v_lshrrev_b32_e32 v1, 3, v3
	s_addc_u32 s1, s11, s1
	v_and_b32_e32 v1, 60, v1
	v_add_u32_e32 v11, v1, v9
	v_mov_b32_e32 v2, s1
	v_add_co_u32_e32 v1, vcc, s0, v9
	v_addc_co_u32_e32 v2, vcc, 0, v2, vcc
	s_and_b64 vcc, exec, s[20:21]
	s_waitcnt lgkmcnt(0)
	s_cbranch_vccz .LBB3_61
; %bb.60:
	s_barrier
	ds_read_b32 v9, v7
	ds_read_b32 v12, v8 offset:512
	ds_read_b32 v13, v10 offset:1024
	ds_read_b32 v6, v11 offset:1536
	s_waitcnt lgkmcnt(3)
	global_store_dword v[1:2], v9, off
	s_waitcnt lgkmcnt(2)
	global_store_dword v[1:2], v12, off offset:512
	s_waitcnt lgkmcnt(1)
	global_store_dword v[1:2], v13, off offset:1024
	s_mov_b64 s[0:1], -1
	s_cbranch_execz .LBB3_62
	s_branch .LBB3_67
.LBB3_61:
	s_mov_b64 s[0:1], 0
                                        ; implicit-def: $vgpr6
.LBB3_62:
	s_waitcnt vmcnt(0) lgkmcnt(0)
	s_barrier
	ds_read_b32 v9, v8 offset:512
	ds_read_b32 v8, v10 offset:1024
	;; [unrolled: 1-line block ×3, first 2 shown]
	s_sub_i32 s2, s16, s18
	v_cmp_gt_u32_e32 vcc, s2, v0
	s_and_saveexec_b64 s[0:1], vcc
	s_cbranch_execnz .LBB3_70
; %bb.63:
	s_or_b64 exec, exec, s[0:1]
	v_cmp_gt_u32_e32 vcc, s2, v5
	s_and_saveexec_b64 s[0:1], vcc
	s_cbranch_execnz .LBB3_71
.LBB3_64:
	s_or_b64 exec, exec, s[0:1]
	v_cmp_gt_u32_e32 vcc, s2, v4
	s_and_saveexec_b64 s[0:1], vcc
	s_cbranch_execz .LBB3_66
.LBB3_65:
	s_waitcnt lgkmcnt(1)
	global_store_dword v[1:2], v8, off offset:1024
.LBB3_66:
	s_or_b64 exec, exec, s[0:1]
	v_cmp_gt_u32_e64 s[0:1], s2, v3
.LBB3_67:
	s_and_saveexec_b64 s[2:3], s[0:1]
	s_cbranch_execz .LBB3_69
; %bb.68:
	s_waitcnt lgkmcnt(0)
	global_store_dword v[1:2], v6, off offset:1536
.LBB3_69:
	s_endpgm
.LBB3_70:
	ds_read_b32 v0, v7
	s_waitcnt lgkmcnt(0)
	global_store_dword v[1:2], v0, off
	s_or_b64 exec, exec, s[0:1]
	v_cmp_gt_u32_e32 vcc, s2, v5
	s_and_saveexec_b64 s[0:1], vcc
	s_cbranch_execz .LBB3_64
.LBB3_71:
	s_waitcnt lgkmcnt(2)
	global_store_dword v[1:2], v9, off offset:512
	s_or_b64 exec, exec, s[0:1]
	v_cmp_gt_u32_e32 vcc, s2, v4
	s_and_saveexec_b64 s[0:1], vcc
	s_cbranch_execnz .LBB3_65
	s_branch .LBB3_66
	.section	.rodata,"a",@progbits
	.p2align	6, 0x0
	.amdhsa_kernel _ZN7rocprim17ROCPRIM_304000_NS6detail35device_block_merge_mergepath_kernelINS1_37wrapped_merge_sort_block_merge_configINS0_14default_configEjN2at4cuda3cub6detail10OpaqueTypeILi8EEEEEPjSC_PSA_SD_jNS1_19radix_merge_compareILb1ELb0EjNS0_19identity_decomposerEEEEEvT0_T1_T2_T3_T4_SL_jT5_PKSL_NS1_7vsmem_tE
		.amdhsa_group_segment_fixed_size 4112
		.amdhsa_private_segment_fixed_size 0
		.amdhsa_kernarg_size 320
		.amdhsa_user_sgpr_count 6
		.amdhsa_user_sgpr_private_segment_buffer 1
		.amdhsa_user_sgpr_dispatch_ptr 0
		.amdhsa_user_sgpr_queue_ptr 0
		.amdhsa_user_sgpr_kernarg_segment_ptr 1
		.amdhsa_user_sgpr_dispatch_id 0
		.amdhsa_user_sgpr_flat_scratch_init 0
		.amdhsa_user_sgpr_private_segment_size 0
		.amdhsa_uses_dynamic_stack 0
		.amdhsa_system_sgpr_private_segment_wavefront_offset 0
		.amdhsa_system_sgpr_workgroup_id_x 1
		.amdhsa_system_sgpr_workgroup_id_y 1
		.amdhsa_system_sgpr_workgroup_id_z 1
		.amdhsa_system_sgpr_workgroup_info 0
		.amdhsa_system_vgpr_workitem_id 0
		.amdhsa_next_free_vgpr 29
		.amdhsa_next_free_sgpr 61
		.amdhsa_reserve_vcc 1
		.amdhsa_reserve_flat_scratch 0
		.amdhsa_float_round_mode_32 0
		.amdhsa_float_round_mode_16_64 0
		.amdhsa_float_denorm_mode_32 3
		.amdhsa_float_denorm_mode_16_64 3
		.amdhsa_dx10_clamp 1
		.amdhsa_ieee_mode 1
		.amdhsa_fp16_overflow 0
		.amdhsa_exception_fp_ieee_invalid_op 0
		.amdhsa_exception_fp_denorm_src 0
		.amdhsa_exception_fp_ieee_div_zero 0
		.amdhsa_exception_fp_ieee_overflow 0
		.amdhsa_exception_fp_ieee_underflow 0
		.amdhsa_exception_fp_ieee_inexact 0
		.amdhsa_exception_int_div_zero 0
	.end_amdhsa_kernel
	.section	.text._ZN7rocprim17ROCPRIM_304000_NS6detail35device_block_merge_mergepath_kernelINS1_37wrapped_merge_sort_block_merge_configINS0_14default_configEjN2at4cuda3cub6detail10OpaqueTypeILi8EEEEEPjSC_PSA_SD_jNS1_19radix_merge_compareILb1ELb0EjNS0_19identity_decomposerEEEEEvT0_T1_T2_T3_T4_SL_jT5_PKSL_NS1_7vsmem_tE,"axG",@progbits,_ZN7rocprim17ROCPRIM_304000_NS6detail35device_block_merge_mergepath_kernelINS1_37wrapped_merge_sort_block_merge_configINS0_14default_configEjN2at4cuda3cub6detail10OpaqueTypeILi8EEEEEPjSC_PSA_SD_jNS1_19radix_merge_compareILb1ELb0EjNS0_19identity_decomposerEEEEEvT0_T1_T2_T3_T4_SL_jT5_PKSL_NS1_7vsmem_tE,comdat
.Lfunc_end3:
	.size	_ZN7rocprim17ROCPRIM_304000_NS6detail35device_block_merge_mergepath_kernelINS1_37wrapped_merge_sort_block_merge_configINS0_14default_configEjN2at4cuda3cub6detail10OpaqueTypeILi8EEEEEPjSC_PSA_SD_jNS1_19radix_merge_compareILb1ELb0EjNS0_19identity_decomposerEEEEEvT0_T1_T2_T3_T4_SL_jT5_PKSL_NS1_7vsmem_tE, .Lfunc_end3-_ZN7rocprim17ROCPRIM_304000_NS6detail35device_block_merge_mergepath_kernelINS1_37wrapped_merge_sort_block_merge_configINS0_14default_configEjN2at4cuda3cub6detail10OpaqueTypeILi8EEEEEPjSC_PSA_SD_jNS1_19radix_merge_compareILb1ELb0EjNS0_19identity_decomposerEEEEEvT0_T1_T2_T3_T4_SL_jT5_PKSL_NS1_7vsmem_tE
                                        ; -- End function
	.set _ZN7rocprim17ROCPRIM_304000_NS6detail35device_block_merge_mergepath_kernelINS1_37wrapped_merge_sort_block_merge_configINS0_14default_configEjN2at4cuda3cub6detail10OpaqueTypeILi8EEEEEPjSC_PSA_SD_jNS1_19radix_merge_compareILb1ELb0EjNS0_19identity_decomposerEEEEEvT0_T1_T2_T3_T4_SL_jT5_PKSL_NS1_7vsmem_tE.num_vgpr, 24
	.set _ZN7rocprim17ROCPRIM_304000_NS6detail35device_block_merge_mergepath_kernelINS1_37wrapped_merge_sort_block_merge_configINS0_14default_configEjN2at4cuda3cub6detail10OpaqueTypeILi8EEEEEPjSC_PSA_SD_jNS1_19radix_merge_compareILb1ELb0EjNS0_19identity_decomposerEEEEEvT0_T1_T2_T3_T4_SL_jT5_PKSL_NS1_7vsmem_tE.num_agpr, 0
	.set _ZN7rocprim17ROCPRIM_304000_NS6detail35device_block_merge_mergepath_kernelINS1_37wrapped_merge_sort_block_merge_configINS0_14default_configEjN2at4cuda3cub6detail10OpaqueTypeILi8EEEEEPjSC_PSA_SD_jNS1_19radix_merge_compareILb1ELb0EjNS0_19identity_decomposerEEEEEvT0_T1_T2_T3_T4_SL_jT5_PKSL_NS1_7vsmem_tE.numbered_sgpr, 32
	.set _ZN7rocprim17ROCPRIM_304000_NS6detail35device_block_merge_mergepath_kernelINS1_37wrapped_merge_sort_block_merge_configINS0_14default_configEjN2at4cuda3cub6detail10OpaqueTypeILi8EEEEEPjSC_PSA_SD_jNS1_19radix_merge_compareILb1ELb0EjNS0_19identity_decomposerEEEEEvT0_T1_T2_T3_T4_SL_jT5_PKSL_NS1_7vsmem_tE.num_named_barrier, 0
	.set _ZN7rocprim17ROCPRIM_304000_NS6detail35device_block_merge_mergepath_kernelINS1_37wrapped_merge_sort_block_merge_configINS0_14default_configEjN2at4cuda3cub6detail10OpaqueTypeILi8EEEEEPjSC_PSA_SD_jNS1_19radix_merge_compareILb1ELb0EjNS0_19identity_decomposerEEEEEvT0_T1_T2_T3_T4_SL_jT5_PKSL_NS1_7vsmem_tE.private_seg_size, 0
	.set _ZN7rocprim17ROCPRIM_304000_NS6detail35device_block_merge_mergepath_kernelINS1_37wrapped_merge_sort_block_merge_configINS0_14default_configEjN2at4cuda3cub6detail10OpaqueTypeILi8EEEEEPjSC_PSA_SD_jNS1_19radix_merge_compareILb1ELb0EjNS0_19identity_decomposerEEEEEvT0_T1_T2_T3_T4_SL_jT5_PKSL_NS1_7vsmem_tE.uses_vcc, 1
	.set _ZN7rocprim17ROCPRIM_304000_NS6detail35device_block_merge_mergepath_kernelINS1_37wrapped_merge_sort_block_merge_configINS0_14default_configEjN2at4cuda3cub6detail10OpaqueTypeILi8EEEEEPjSC_PSA_SD_jNS1_19radix_merge_compareILb1ELb0EjNS0_19identity_decomposerEEEEEvT0_T1_T2_T3_T4_SL_jT5_PKSL_NS1_7vsmem_tE.uses_flat_scratch, 0
	.set _ZN7rocprim17ROCPRIM_304000_NS6detail35device_block_merge_mergepath_kernelINS1_37wrapped_merge_sort_block_merge_configINS0_14default_configEjN2at4cuda3cub6detail10OpaqueTypeILi8EEEEEPjSC_PSA_SD_jNS1_19radix_merge_compareILb1ELb0EjNS0_19identity_decomposerEEEEEvT0_T1_T2_T3_T4_SL_jT5_PKSL_NS1_7vsmem_tE.has_dyn_sized_stack, 0
	.set _ZN7rocprim17ROCPRIM_304000_NS6detail35device_block_merge_mergepath_kernelINS1_37wrapped_merge_sort_block_merge_configINS0_14default_configEjN2at4cuda3cub6detail10OpaqueTypeILi8EEEEEPjSC_PSA_SD_jNS1_19radix_merge_compareILb1ELb0EjNS0_19identity_decomposerEEEEEvT0_T1_T2_T3_T4_SL_jT5_PKSL_NS1_7vsmem_tE.has_recursion, 0
	.set _ZN7rocprim17ROCPRIM_304000_NS6detail35device_block_merge_mergepath_kernelINS1_37wrapped_merge_sort_block_merge_configINS0_14default_configEjN2at4cuda3cub6detail10OpaqueTypeILi8EEEEEPjSC_PSA_SD_jNS1_19radix_merge_compareILb1ELb0EjNS0_19identity_decomposerEEEEEvT0_T1_T2_T3_T4_SL_jT5_PKSL_NS1_7vsmem_tE.has_indirect_call, 0
	.section	.AMDGPU.csdata,"",@progbits
; Kernel info:
; codeLenInByte = 3272
; TotalNumSgprs: 36
; NumVgprs: 24
; ScratchSize: 0
; MemoryBound: 0
; FloatMode: 240
; IeeeMode: 1
; LDSByteSize: 4112 bytes/workgroup (compile time only)
; SGPRBlocks: 8
; VGPRBlocks: 7
; NumSGPRsForWavesPerEU: 65
; NumVGPRsForWavesPerEU: 29
; Occupancy: 8
; WaveLimiterHint : 1
; COMPUTE_PGM_RSRC2:SCRATCH_EN: 0
; COMPUTE_PGM_RSRC2:USER_SGPR: 6
; COMPUTE_PGM_RSRC2:TRAP_HANDLER: 0
; COMPUTE_PGM_RSRC2:TGID_X_EN: 1
; COMPUTE_PGM_RSRC2:TGID_Y_EN: 1
; COMPUTE_PGM_RSRC2:TGID_Z_EN: 1
; COMPUTE_PGM_RSRC2:TIDIG_COMP_CNT: 0
	.section	.text._ZN7rocprim17ROCPRIM_304000_NS6detail33device_block_merge_oddeven_kernelINS1_37wrapped_merge_sort_block_merge_configINS0_14default_configEjN2at4cuda3cub6detail10OpaqueTypeILi8EEEEEPjSC_PSA_SD_jNS1_19radix_merge_compareILb1ELb0EjNS0_19identity_decomposerEEEEEvT0_T1_T2_T3_T4_SL_T5_,"axG",@progbits,_ZN7rocprim17ROCPRIM_304000_NS6detail33device_block_merge_oddeven_kernelINS1_37wrapped_merge_sort_block_merge_configINS0_14default_configEjN2at4cuda3cub6detail10OpaqueTypeILi8EEEEEPjSC_PSA_SD_jNS1_19radix_merge_compareILb1ELb0EjNS0_19identity_decomposerEEEEEvT0_T1_T2_T3_T4_SL_T5_,comdat
	.protected	_ZN7rocprim17ROCPRIM_304000_NS6detail33device_block_merge_oddeven_kernelINS1_37wrapped_merge_sort_block_merge_configINS0_14default_configEjN2at4cuda3cub6detail10OpaqueTypeILi8EEEEEPjSC_PSA_SD_jNS1_19radix_merge_compareILb1ELb0EjNS0_19identity_decomposerEEEEEvT0_T1_T2_T3_T4_SL_T5_ ; -- Begin function _ZN7rocprim17ROCPRIM_304000_NS6detail33device_block_merge_oddeven_kernelINS1_37wrapped_merge_sort_block_merge_configINS0_14default_configEjN2at4cuda3cub6detail10OpaqueTypeILi8EEEEEPjSC_PSA_SD_jNS1_19radix_merge_compareILb1ELb0EjNS0_19identity_decomposerEEEEEvT0_T1_T2_T3_T4_SL_T5_
	.globl	_ZN7rocprim17ROCPRIM_304000_NS6detail33device_block_merge_oddeven_kernelINS1_37wrapped_merge_sort_block_merge_configINS0_14default_configEjN2at4cuda3cub6detail10OpaqueTypeILi8EEEEEPjSC_PSA_SD_jNS1_19radix_merge_compareILb1ELb0EjNS0_19identity_decomposerEEEEEvT0_T1_T2_T3_T4_SL_T5_
	.p2align	8
	.type	_ZN7rocprim17ROCPRIM_304000_NS6detail33device_block_merge_oddeven_kernelINS1_37wrapped_merge_sort_block_merge_configINS0_14default_configEjN2at4cuda3cub6detail10OpaqueTypeILi8EEEEEPjSC_PSA_SD_jNS1_19radix_merge_compareILb1ELb0EjNS0_19identity_decomposerEEEEEvT0_T1_T2_T3_T4_SL_T5_,@function
_ZN7rocprim17ROCPRIM_304000_NS6detail33device_block_merge_oddeven_kernelINS1_37wrapped_merge_sort_block_merge_configINS0_14default_configEjN2at4cuda3cub6detail10OpaqueTypeILi8EEEEEPjSC_PSA_SD_jNS1_19radix_merge_compareILb1ELb0EjNS0_19identity_decomposerEEEEEvT0_T1_T2_T3_T4_SL_T5_: ; @_ZN7rocprim17ROCPRIM_304000_NS6detail33device_block_merge_oddeven_kernelINS1_37wrapped_merge_sort_block_merge_configINS0_14default_configEjN2at4cuda3cub6detail10OpaqueTypeILi8EEEEEPjSC_PSA_SD_jNS1_19radix_merge_compareILb1ELb0EjNS0_19identity_decomposerEEEEEvT0_T1_T2_T3_T4_SL_T5_
; %bb.0:
	s_load_dwordx2 s[18:19], s[4:5], 0x20
	s_waitcnt lgkmcnt(0)
	s_lshr_b32 s0, s18, 7
	s_cmp_eq_u32 s6, s0
	s_cselect_b64 s[16:17], -1, 0
	s_cmp_lg_u32 s6, s0
	s_cselect_b64 s[0:1], -1, 0
	s_lshl_b32 s20, s6, 7
	s_sub_i32 s2, s18, s20
	v_cmp_gt_u32_e64 s[2:3], s2, v0
	s_or_b64 s[0:1], s[0:1], s[2:3]
	s_and_saveexec_b64 s[8:9], s[0:1]
	s_cbranch_execz .LBB4_24
; %bb.1:
	s_load_dwordx8 s[8:15], s[4:5], 0x0
	s_mov_b32 s21, 0
	s_lshl_b64 s[0:1], s[20:21], 2
	v_lshlrev_b32_e32 v4, 3, v0
	v_lshlrev_b32_e32 v3, 2, v0
	s_waitcnt lgkmcnt(0)
	s_add_u32 s0, s8, s0
	s_addc_u32 s1, s9, s1
	s_lshl_b64 s[4:5], s[20:21], 3
	s_add_u32 s4, s12, s4
	s_addc_u32 s5, s13, s5
	global_load_dwordx2 v[1:2], v4, s[4:5]
	global_load_dword v5, v3, s[0:1]
	s_lshr_b32 s0, s19, 7
	s_sub_i32 s1, 0, s0
	s_and_b32 s1, s6, s1
	s_and_b32 s0, s1, s0
	s_lshl_b32 s13, s1, 7
	s_sub_i32 s6, 0, s19
	s_cmp_eq_u32 s0, 0
	s_cselect_b64 s[0:1], -1, 0
	s_and_b64 s[4:5], s[0:1], exec
	s_cselect_b32 s6, s19, s6
	s_add_i32 s6, s6, s13
	s_mov_b64 s[4:5], -1
	s_cmp_gt_u32 s18, s6
	v_add_u32_e32 v3, s20, v0
	s_cbranch_scc1 .LBB4_9
; %bb.2:
	s_and_b64 vcc, exec, s[16:17]
	s_cbranch_vccz .LBB4_6
; %bb.3:
	v_cmp_gt_u32_e32 vcc, s18, v3
	s_and_saveexec_b64 s[4:5], vcc
	s_cbranch_execz .LBB4_5
; %bb.4:
	v_mov_b32_e32 v4, 0
	v_lshlrev_b64 v[6:7], 3, v[3:4]
	v_mov_b32_e32 v0, s15
	v_add_co_u32_e32 v6, vcc, s14, v6
	v_lshlrev_b64 v[8:9], 2, v[3:4]
	v_addc_co_u32_e32 v7, vcc, v0, v7, vcc
	v_mov_b32_e32 v0, s11
	v_add_co_u32_e32 v8, vcc, s10, v8
	v_addc_co_u32_e32 v9, vcc, v0, v9, vcc
	s_waitcnt vmcnt(0)
	global_store_dword v[8:9], v5, off
	global_store_dwordx2 v[6:7], v[1:2], off
.LBB4_5:
	s_or_b64 exec, exec, s[4:5]
	s_mov_b64 s[4:5], 0
.LBB4_6:
	s_andn2_b64 vcc, exec, s[4:5]
	s_cbranch_vccnz .LBB4_8
; %bb.7:
	v_mov_b32_e32 v4, 0
	v_lshlrev_b64 v[6:7], 2, v[3:4]
	v_mov_b32_e32 v0, s11
	v_add_co_u32_e32 v6, vcc, s10, v6
	v_lshlrev_b64 v[8:9], 3, v[3:4]
	v_addc_co_u32_e32 v7, vcc, v0, v7, vcc
	v_mov_b32_e32 v0, s15
	v_add_co_u32_e32 v8, vcc, s14, v8
	v_addc_co_u32_e32 v9, vcc, v0, v9, vcc
	s_waitcnt vmcnt(0)
	global_store_dword v[6:7], v5, off
	global_store_dwordx2 v[8:9], v[1:2], off
.LBB4_8:
	s_mov_b64 s[4:5], 0
.LBB4_9:
	s_andn2_b64 vcc, exec, s[4:5]
	s_cbranch_vccnz .LBB4_24
; %bb.10:
	s_min_u32 s7, s6, s18
	s_add_i32 s4, s7, s19
	s_min_u32 s12, s4, s18
	s_min_u32 s4, s13, s7
	s_add_i32 s13, s13, s7
	v_subrev_u32_e32 v0, s13, v3
	v_add_u32_e32 v0, s4, v0
	s_andn2_b64 vcc, exec, s[16:17]
	s_mov_b64 s[4:5], -1
	s_cbranch_vccnz .LBB4_18
; %bb.11:
	s_and_saveexec_b64 s[4:5], s[2:3]
	s_cbranch_execz .LBB4_17
; %bb.12:
	s_cmp_ge_u32 s6, s12
	v_mov_b32_e32 v6, s7
	s_cbranch_scc1 .LBB4_16
; %bb.13:
	s_mov_b64 s[2:3], 0
	v_mov_b32_e32 v7, s12
	v_mov_b32_e32 v6, s7
	;; [unrolled: 1-line block ×4, first 2 shown]
.LBB4_14:                               ; =>This Inner Loop Header: Depth=1
	v_add_u32_e32 v3, v6, v7
	v_lshrrev_b32_e32 v3, 1, v3
	v_lshlrev_b64 v[9:10], 2, v[3:4]
	v_add_co_u32_e32 v9, vcc, s8, v9
	v_addc_co_u32_e32 v10, vcc, v8, v10, vcc
	global_load_dword v9, v[9:10], off
	v_add_u32_e32 v10, 1, v3
	s_waitcnt vmcnt(0)
	v_cmp_gt_u32_e32 vcc, v9, v5
	v_cndmask_b32_e64 v11, 0, 1, vcc
	v_cmp_le_u32_e32 vcc, v5, v9
	v_cndmask_b32_e64 v9, 0, 1, vcc
	v_cndmask_b32_e64 v9, v9, v11, s[0:1]
	v_and_b32_e32 v9, 1, v9
	v_cmp_eq_u32_e32 vcc, 1, v9
	v_cndmask_b32_e32 v7, v3, v7, vcc
	v_cndmask_b32_e32 v6, v6, v10, vcc
	v_cmp_ge_u32_e32 vcc, v6, v7
	s_or_b64 s[2:3], vcc, s[2:3]
	s_andn2_b64 exec, exec, s[2:3]
	s_cbranch_execnz .LBB4_14
; %bb.15:
	s_or_b64 exec, exec, s[2:3]
.LBB4_16:
	v_add_u32_e32 v3, v6, v0
	v_mov_b32_e32 v4, 0
	v_lshlrev_b64 v[6:7], 2, v[3:4]
	v_mov_b32_e32 v8, s11
	v_add_co_u32_e32 v6, vcc, s10, v6
	v_lshlrev_b64 v[3:4], 3, v[3:4]
	v_addc_co_u32_e32 v7, vcc, v8, v7, vcc
	s_waitcnt vmcnt(0)
	global_store_dword v[6:7], v5, off
	v_mov_b32_e32 v6, s15
	v_add_co_u32_e32 v3, vcc, s14, v3
	v_addc_co_u32_e32 v4, vcc, v6, v4, vcc
	global_store_dwordx2 v[3:4], v[1:2], off
.LBB4_17:
	s_or_b64 exec, exec, s[4:5]
	s_mov_b64 s[4:5], 0
.LBB4_18:
	s_andn2_b64 vcc, exec, s[4:5]
	s_cbranch_vccnz .LBB4_24
; %bb.19:
	s_cmp_ge_u32 s6, s12
	v_mov_b32_e32 v6, s7
	s_cbranch_scc1 .LBB4_23
; %bb.20:
	s_mov_b64 s[2:3], 0
	v_mov_b32_e32 v7, s12
	v_mov_b32_e32 v6, s7
	;; [unrolled: 1-line block ×4, first 2 shown]
.LBB4_21:                               ; =>This Inner Loop Header: Depth=1
	v_add_u32_e32 v3, v6, v7
	v_lshrrev_b32_e32 v3, 1, v3
	v_lshlrev_b64 v[9:10], 2, v[3:4]
	v_add_co_u32_e32 v9, vcc, s8, v9
	v_addc_co_u32_e32 v10, vcc, v8, v10, vcc
	global_load_dword v9, v[9:10], off
	v_add_u32_e32 v10, 1, v3
	s_waitcnt vmcnt(0)
	v_cmp_gt_u32_e32 vcc, v9, v5
	v_cndmask_b32_e64 v11, 0, 1, vcc
	v_cmp_le_u32_e32 vcc, v5, v9
	v_cndmask_b32_e64 v9, 0, 1, vcc
	v_cndmask_b32_e64 v9, v9, v11, s[0:1]
	v_and_b32_e32 v9, 1, v9
	v_cmp_eq_u32_e32 vcc, 1, v9
	v_cndmask_b32_e32 v7, v3, v7, vcc
	v_cndmask_b32_e32 v6, v6, v10, vcc
	v_cmp_ge_u32_e32 vcc, v6, v7
	s_or_b64 s[2:3], vcc, s[2:3]
	s_andn2_b64 exec, exec, s[2:3]
	s_cbranch_execnz .LBB4_21
; %bb.22:
	s_or_b64 exec, exec, s[2:3]
.LBB4_23:
	v_add_u32_e32 v3, v6, v0
	v_mov_b32_e32 v4, 0
	v_lshlrev_b64 v[6:7], 2, v[3:4]
	v_mov_b32_e32 v0, s11
	v_add_co_u32_e32 v6, vcc, s10, v6
	v_lshlrev_b64 v[3:4], 3, v[3:4]
	v_addc_co_u32_e32 v7, vcc, v0, v7, vcc
	v_mov_b32_e32 v0, s15
	v_add_co_u32_e32 v3, vcc, s14, v3
	v_addc_co_u32_e32 v4, vcc, v0, v4, vcc
	s_waitcnt vmcnt(0)
	global_store_dword v[6:7], v5, off
	global_store_dwordx2 v[3:4], v[1:2], off
.LBB4_24:
	s_endpgm
	.section	.rodata,"a",@progbits
	.p2align	6, 0x0
	.amdhsa_kernel _ZN7rocprim17ROCPRIM_304000_NS6detail33device_block_merge_oddeven_kernelINS1_37wrapped_merge_sort_block_merge_configINS0_14default_configEjN2at4cuda3cub6detail10OpaqueTypeILi8EEEEEPjSC_PSA_SD_jNS1_19radix_merge_compareILb1ELb0EjNS0_19identity_decomposerEEEEEvT0_T1_T2_T3_T4_SL_T5_
		.amdhsa_group_segment_fixed_size 0
		.amdhsa_private_segment_fixed_size 0
		.amdhsa_kernarg_size 44
		.amdhsa_user_sgpr_count 6
		.amdhsa_user_sgpr_private_segment_buffer 1
		.amdhsa_user_sgpr_dispatch_ptr 0
		.amdhsa_user_sgpr_queue_ptr 0
		.amdhsa_user_sgpr_kernarg_segment_ptr 1
		.amdhsa_user_sgpr_dispatch_id 0
		.amdhsa_user_sgpr_flat_scratch_init 0
		.amdhsa_user_sgpr_private_segment_size 0
		.amdhsa_uses_dynamic_stack 0
		.amdhsa_system_sgpr_private_segment_wavefront_offset 0
		.amdhsa_system_sgpr_workgroup_id_x 1
		.amdhsa_system_sgpr_workgroup_id_y 0
		.amdhsa_system_sgpr_workgroup_id_z 0
		.amdhsa_system_sgpr_workgroup_info 0
		.amdhsa_system_vgpr_workitem_id 0
		.amdhsa_next_free_vgpr 12
		.amdhsa_next_free_sgpr 22
		.amdhsa_reserve_vcc 1
		.amdhsa_reserve_flat_scratch 0
		.amdhsa_float_round_mode_32 0
		.amdhsa_float_round_mode_16_64 0
		.amdhsa_float_denorm_mode_32 3
		.amdhsa_float_denorm_mode_16_64 3
		.amdhsa_dx10_clamp 1
		.amdhsa_ieee_mode 1
		.amdhsa_fp16_overflow 0
		.amdhsa_exception_fp_ieee_invalid_op 0
		.amdhsa_exception_fp_denorm_src 0
		.amdhsa_exception_fp_ieee_div_zero 0
		.amdhsa_exception_fp_ieee_overflow 0
		.amdhsa_exception_fp_ieee_underflow 0
		.amdhsa_exception_fp_ieee_inexact 0
		.amdhsa_exception_int_div_zero 0
	.end_amdhsa_kernel
	.section	.text._ZN7rocprim17ROCPRIM_304000_NS6detail33device_block_merge_oddeven_kernelINS1_37wrapped_merge_sort_block_merge_configINS0_14default_configEjN2at4cuda3cub6detail10OpaqueTypeILi8EEEEEPjSC_PSA_SD_jNS1_19radix_merge_compareILb1ELb0EjNS0_19identity_decomposerEEEEEvT0_T1_T2_T3_T4_SL_T5_,"axG",@progbits,_ZN7rocprim17ROCPRIM_304000_NS6detail33device_block_merge_oddeven_kernelINS1_37wrapped_merge_sort_block_merge_configINS0_14default_configEjN2at4cuda3cub6detail10OpaqueTypeILi8EEEEEPjSC_PSA_SD_jNS1_19radix_merge_compareILb1ELb0EjNS0_19identity_decomposerEEEEEvT0_T1_T2_T3_T4_SL_T5_,comdat
.Lfunc_end4:
	.size	_ZN7rocprim17ROCPRIM_304000_NS6detail33device_block_merge_oddeven_kernelINS1_37wrapped_merge_sort_block_merge_configINS0_14default_configEjN2at4cuda3cub6detail10OpaqueTypeILi8EEEEEPjSC_PSA_SD_jNS1_19radix_merge_compareILb1ELb0EjNS0_19identity_decomposerEEEEEvT0_T1_T2_T3_T4_SL_T5_, .Lfunc_end4-_ZN7rocprim17ROCPRIM_304000_NS6detail33device_block_merge_oddeven_kernelINS1_37wrapped_merge_sort_block_merge_configINS0_14default_configEjN2at4cuda3cub6detail10OpaqueTypeILi8EEEEEPjSC_PSA_SD_jNS1_19radix_merge_compareILb1ELb0EjNS0_19identity_decomposerEEEEEvT0_T1_T2_T3_T4_SL_T5_
                                        ; -- End function
	.set _ZN7rocprim17ROCPRIM_304000_NS6detail33device_block_merge_oddeven_kernelINS1_37wrapped_merge_sort_block_merge_configINS0_14default_configEjN2at4cuda3cub6detail10OpaqueTypeILi8EEEEEPjSC_PSA_SD_jNS1_19radix_merge_compareILb1ELb0EjNS0_19identity_decomposerEEEEEvT0_T1_T2_T3_T4_SL_T5_.num_vgpr, 12
	.set _ZN7rocprim17ROCPRIM_304000_NS6detail33device_block_merge_oddeven_kernelINS1_37wrapped_merge_sort_block_merge_configINS0_14default_configEjN2at4cuda3cub6detail10OpaqueTypeILi8EEEEEPjSC_PSA_SD_jNS1_19radix_merge_compareILb1ELb0EjNS0_19identity_decomposerEEEEEvT0_T1_T2_T3_T4_SL_T5_.num_agpr, 0
	.set _ZN7rocprim17ROCPRIM_304000_NS6detail33device_block_merge_oddeven_kernelINS1_37wrapped_merge_sort_block_merge_configINS0_14default_configEjN2at4cuda3cub6detail10OpaqueTypeILi8EEEEEPjSC_PSA_SD_jNS1_19radix_merge_compareILb1ELb0EjNS0_19identity_decomposerEEEEEvT0_T1_T2_T3_T4_SL_T5_.numbered_sgpr, 22
	.set _ZN7rocprim17ROCPRIM_304000_NS6detail33device_block_merge_oddeven_kernelINS1_37wrapped_merge_sort_block_merge_configINS0_14default_configEjN2at4cuda3cub6detail10OpaqueTypeILi8EEEEEPjSC_PSA_SD_jNS1_19radix_merge_compareILb1ELb0EjNS0_19identity_decomposerEEEEEvT0_T1_T2_T3_T4_SL_T5_.num_named_barrier, 0
	.set _ZN7rocprim17ROCPRIM_304000_NS6detail33device_block_merge_oddeven_kernelINS1_37wrapped_merge_sort_block_merge_configINS0_14default_configEjN2at4cuda3cub6detail10OpaqueTypeILi8EEEEEPjSC_PSA_SD_jNS1_19radix_merge_compareILb1ELb0EjNS0_19identity_decomposerEEEEEvT0_T1_T2_T3_T4_SL_T5_.private_seg_size, 0
	.set _ZN7rocprim17ROCPRIM_304000_NS6detail33device_block_merge_oddeven_kernelINS1_37wrapped_merge_sort_block_merge_configINS0_14default_configEjN2at4cuda3cub6detail10OpaqueTypeILi8EEEEEPjSC_PSA_SD_jNS1_19radix_merge_compareILb1ELb0EjNS0_19identity_decomposerEEEEEvT0_T1_T2_T3_T4_SL_T5_.uses_vcc, 1
	.set _ZN7rocprim17ROCPRIM_304000_NS6detail33device_block_merge_oddeven_kernelINS1_37wrapped_merge_sort_block_merge_configINS0_14default_configEjN2at4cuda3cub6detail10OpaqueTypeILi8EEEEEPjSC_PSA_SD_jNS1_19radix_merge_compareILb1ELb0EjNS0_19identity_decomposerEEEEEvT0_T1_T2_T3_T4_SL_T5_.uses_flat_scratch, 0
	.set _ZN7rocprim17ROCPRIM_304000_NS6detail33device_block_merge_oddeven_kernelINS1_37wrapped_merge_sort_block_merge_configINS0_14default_configEjN2at4cuda3cub6detail10OpaqueTypeILi8EEEEEPjSC_PSA_SD_jNS1_19radix_merge_compareILb1ELb0EjNS0_19identity_decomposerEEEEEvT0_T1_T2_T3_T4_SL_T5_.has_dyn_sized_stack, 0
	.set _ZN7rocprim17ROCPRIM_304000_NS6detail33device_block_merge_oddeven_kernelINS1_37wrapped_merge_sort_block_merge_configINS0_14default_configEjN2at4cuda3cub6detail10OpaqueTypeILi8EEEEEPjSC_PSA_SD_jNS1_19radix_merge_compareILb1ELb0EjNS0_19identity_decomposerEEEEEvT0_T1_T2_T3_T4_SL_T5_.has_recursion, 0
	.set _ZN7rocprim17ROCPRIM_304000_NS6detail33device_block_merge_oddeven_kernelINS1_37wrapped_merge_sort_block_merge_configINS0_14default_configEjN2at4cuda3cub6detail10OpaqueTypeILi8EEEEEPjSC_PSA_SD_jNS1_19radix_merge_compareILb1ELb0EjNS0_19identity_decomposerEEEEEvT0_T1_T2_T3_T4_SL_T5_.has_indirect_call, 0
	.section	.AMDGPU.csdata,"",@progbits
; Kernel info:
; codeLenInByte = 844
; TotalNumSgprs: 26
; NumVgprs: 12
; ScratchSize: 0
; MemoryBound: 0
; FloatMode: 240
; IeeeMode: 1
; LDSByteSize: 0 bytes/workgroup (compile time only)
; SGPRBlocks: 3
; VGPRBlocks: 2
; NumSGPRsForWavesPerEU: 26
; NumVGPRsForWavesPerEU: 12
; Occupancy: 10
; WaveLimiterHint : 0
; COMPUTE_PGM_RSRC2:SCRATCH_EN: 0
; COMPUTE_PGM_RSRC2:USER_SGPR: 6
; COMPUTE_PGM_RSRC2:TRAP_HANDLER: 0
; COMPUTE_PGM_RSRC2:TGID_X_EN: 1
; COMPUTE_PGM_RSRC2:TGID_Y_EN: 0
; COMPUTE_PGM_RSRC2:TGID_Z_EN: 0
; COMPUTE_PGM_RSRC2:TIDIG_COMP_CNT: 0
	.section	.text._ZN7rocprim17ROCPRIM_304000_NS6detail16transform_kernelINS1_24wrapped_transform_configINS0_14default_configEjEEjPjS6_NS0_8identityIjEEEEvT1_mT2_T3_,"axG",@progbits,_ZN7rocprim17ROCPRIM_304000_NS6detail16transform_kernelINS1_24wrapped_transform_configINS0_14default_configEjEEjPjS6_NS0_8identityIjEEEEvT1_mT2_T3_,comdat
	.protected	_ZN7rocprim17ROCPRIM_304000_NS6detail16transform_kernelINS1_24wrapped_transform_configINS0_14default_configEjEEjPjS6_NS0_8identityIjEEEEvT1_mT2_T3_ ; -- Begin function _ZN7rocprim17ROCPRIM_304000_NS6detail16transform_kernelINS1_24wrapped_transform_configINS0_14default_configEjEEjPjS6_NS0_8identityIjEEEEvT1_mT2_T3_
	.globl	_ZN7rocprim17ROCPRIM_304000_NS6detail16transform_kernelINS1_24wrapped_transform_configINS0_14default_configEjEEjPjS6_NS0_8identityIjEEEEvT1_mT2_T3_
	.p2align	8
	.type	_ZN7rocprim17ROCPRIM_304000_NS6detail16transform_kernelINS1_24wrapped_transform_configINS0_14default_configEjEEjPjS6_NS0_8identityIjEEEEvT1_mT2_T3_,@function
_ZN7rocprim17ROCPRIM_304000_NS6detail16transform_kernelINS1_24wrapped_transform_configINS0_14default_configEjEEjPjS6_NS0_8identityIjEEEEvT1_mT2_T3_: ; @_ZN7rocprim17ROCPRIM_304000_NS6detail16transform_kernelINS1_24wrapped_transform_configINS0_14default_configEjEEjPjS6_NS0_8identityIjEEEEvT1_mT2_T3_
; %bb.0:
	s_load_dword s7, s[4:5], 0x20
	s_load_dwordx4 s[0:3], s[4:5], 0x0
	s_load_dwordx2 s[8:9], s[4:5], 0x10
	s_lshl_b32 s10, s6, 11
	s_mov_b32 s11, 0
	s_waitcnt lgkmcnt(0)
	s_add_i32 s7, s7, -1
	s_lshl_b64 s[4:5], s[10:11], 2
	s_add_u32 s0, s0, s4
	s_addc_u32 s1, s1, s5
	v_lshlrev_b32_e32 v5, 2, v0
	v_mov_b32_e32 v2, s1
	v_add_co_u32_e32 v1, vcc, s0, v5
	s_cmp_lg_u32 s6, s7
	v_addc_co_u32_e32 v2, vcc, 0, v2, vcc
	s_cbranch_scc0 .LBB5_2
; %bb.1:
	v_add_co_u32_e32 v3, vcc, 0x1000, v1
	global_load_dword v6, v[1:2], off
	v_addc_co_u32_e32 v4, vcc, 0, v2, vcc
	global_load_dword v3, v[3:4], off
	s_add_u32 s0, s8, s4
	s_addc_u32 s1, s9, s5
	s_mov_b64 s[6:7], -1
	s_waitcnt vmcnt(1)
	global_store_dword v5, v6, s[0:1]
	s_cbranch_execz .LBB5_3
	s_branch .LBB5_10
.LBB5_2:
	s_mov_b64 s[6:7], 0
                                        ; implicit-def: $vgpr3
.LBB5_3:
	s_sub_i32 s10, s2, s10
	s_waitcnt vmcnt(1)
	v_mov_b32_e32 v3, 0
	v_cmp_gt_u32_e64 s[0:1], s10, v0
	v_mov_b32_e32 v4, v3
	s_and_saveexec_b64 s[2:3], s[0:1]
	s_cbranch_execz .LBB5_5
; %bb.4:
	global_load_dword v6, v[1:2], off
	v_mov_b32_e32 v7, v3
	s_waitcnt vmcnt(0)
	v_mov_b32_e32 v3, v6
	v_mov_b32_e32 v4, v7
.LBB5_5:
	s_or_b64 exec, exec, s[2:3]
	v_or_b32_e32 v0, 0x400, v0
	v_cmp_gt_u32_e64 s[2:3], s10, v0
	s_and_saveexec_b64 s[10:11], s[2:3]
	s_cbranch_execnz .LBB5_13
; %bb.6:
	s_or_b64 exec, exec, s[10:11]
	v_cndmask_b32_e64 v0, 0, v3, s[0:1]
	s_and_saveexec_b64 s[10:11], s[0:1]
	s_cbranch_execnz .LBB5_14
.LBB5_7:
	s_or_b64 exec, exec, s[10:11]
                                        ; implicit-def: $vgpr3
	s_and_saveexec_b64 s[0:1], s[2:3]
	s_cbranch_execz .LBB5_9
.LBB5_8:
	s_waitcnt vmcnt(0)
	v_cndmask_b32_e64 v3, 0, v4, s[2:3]
	s_or_b64 s[6:7], s[6:7], exec
.LBB5_9:
	s_or_b64 exec, exec, s[0:1]
.LBB5_10:
	s_and_saveexec_b64 s[0:1], s[6:7]
	s_cbranch_execnz .LBB5_12
; %bb.11:
	s_endpgm
.LBB5_12:
	s_add_u32 s0, s8, s4
	s_addc_u32 s1, s9, s5
	v_mov_b32_e32 v0, s1
	v_add_co_u32_e32 v1, vcc, s0, v5
	v_addc_co_u32_e32 v2, vcc, 0, v0, vcc
	v_add_co_u32_e32 v0, vcc, 0x1000, v1
	v_addc_co_u32_e32 v1, vcc, 0, v2, vcc
	s_waitcnt vmcnt(1)
	global_store_dword v[0:1], v3, off
	s_endpgm
.LBB5_13:
	v_add_co_u32_e32 v0, vcc, 0x1000, v1
	v_addc_co_u32_e32 v1, vcc, 0, v2, vcc
	global_load_dword v4, v[0:1], off
	s_or_b64 exec, exec, s[10:11]
	v_cndmask_b32_e64 v0, 0, v3, s[0:1]
	s_and_saveexec_b64 s[10:11], s[0:1]
	s_cbranch_execz .LBB5_7
.LBB5_14:
	s_add_u32 s0, s8, s4
	s_addc_u32 s1, s9, s5
	global_store_dword v5, v0, s[0:1]
	s_or_b64 exec, exec, s[10:11]
                                        ; implicit-def: $vgpr3
	s_and_saveexec_b64 s[0:1], s[2:3]
	s_cbranch_execnz .LBB5_8
	s_branch .LBB5_9
	.section	.rodata,"a",@progbits
	.p2align	6, 0x0
	.amdhsa_kernel _ZN7rocprim17ROCPRIM_304000_NS6detail16transform_kernelINS1_24wrapped_transform_configINS0_14default_configEjEEjPjS6_NS0_8identityIjEEEEvT1_mT2_T3_
		.amdhsa_group_segment_fixed_size 0
		.amdhsa_private_segment_fixed_size 0
		.amdhsa_kernarg_size 288
		.amdhsa_user_sgpr_count 6
		.amdhsa_user_sgpr_private_segment_buffer 1
		.amdhsa_user_sgpr_dispatch_ptr 0
		.amdhsa_user_sgpr_queue_ptr 0
		.amdhsa_user_sgpr_kernarg_segment_ptr 1
		.amdhsa_user_sgpr_dispatch_id 0
		.amdhsa_user_sgpr_flat_scratch_init 0
		.amdhsa_user_sgpr_private_segment_size 0
		.amdhsa_uses_dynamic_stack 0
		.amdhsa_system_sgpr_private_segment_wavefront_offset 0
		.amdhsa_system_sgpr_workgroup_id_x 1
		.amdhsa_system_sgpr_workgroup_id_y 0
		.amdhsa_system_sgpr_workgroup_id_z 0
		.amdhsa_system_sgpr_workgroup_info 0
		.amdhsa_system_vgpr_workitem_id 0
		.amdhsa_next_free_vgpr 8
		.amdhsa_next_free_sgpr 12
		.amdhsa_reserve_vcc 1
		.amdhsa_reserve_flat_scratch 0
		.amdhsa_float_round_mode_32 0
		.amdhsa_float_round_mode_16_64 0
		.amdhsa_float_denorm_mode_32 3
		.amdhsa_float_denorm_mode_16_64 3
		.amdhsa_dx10_clamp 1
		.amdhsa_ieee_mode 1
		.amdhsa_fp16_overflow 0
		.amdhsa_exception_fp_ieee_invalid_op 0
		.amdhsa_exception_fp_denorm_src 0
		.amdhsa_exception_fp_ieee_div_zero 0
		.amdhsa_exception_fp_ieee_overflow 0
		.amdhsa_exception_fp_ieee_underflow 0
		.amdhsa_exception_fp_ieee_inexact 0
		.amdhsa_exception_int_div_zero 0
	.end_amdhsa_kernel
	.section	.text._ZN7rocprim17ROCPRIM_304000_NS6detail16transform_kernelINS1_24wrapped_transform_configINS0_14default_configEjEEjPjS6_NS0_8identityIjEEEEvT1_mT2_T3_,"axG",@progbits,_ZN7rocprim17ROCPRIM_304000_NS6detail16transform_kernelINS1_24wrapped_transform_configINS0_14default_configEjEEjPjS6_NS0_8identityIjEEEEvT1_mT2_T3_,comdat
.Lfunc_end5:
	.size	_ZN7rocprim17ROCPRIM_304000_NS6detail16transform_kernelINS1_24wrapped_transform_configINS0_14default_configEjEEjPjS6_NS0_8identityIjEEEEvT1_mT2_T3_, .Lfunc_end5-_ZN7rocprim17ROCPRIM_304000_NS6detail16transform_kernelINS1_24wrapped_transform_configINS0_14default_configEjEEjPjS6_NS0_8identityIjEEEEvT1_mT2_T3_
                                        ; -- End function
	.set _ZN7rocprim17ROCPRIM_304000_NS6detail16transform_kernelINS1_24wrapped_transform_configINS0_14default_configEjEEjPjS6_NS0_8identityIjEEEEvT1_mT2_T3_.num_vgpr, 8
	.set _ZN7rocprim17ROCPRIM_304000_NS6detail16transform_kernelINS1_24wrapped_transform_configINS0_14default_configEjEEjPjS6_NS0_8identityIjEEEEvT1_mT2_T3_.num_agpr, 0
	.set _ZN7rocprim17ROCPRIM_304000_NS6detail16transform_kernelINS1_24wrapped_transform_configINS0_14default_configEjEEjPjS6_NS0_8identityIjEEEEvT1_mT2_T3_.numbered_sgpr, 12
	.set _ZN7rocprim17ROCPRIM_304000_NS6detail16transform_kernelINS1_24wrapped_transform_configINS0_14default_configEjEEjPjS6_NS0_8identityIjEEEEvT1_mT2_T3_.num_named_barrier, 0
	.set _ZN7rocprim17ROCPRIM_304000_NS6detail16transform_kernelINS1_24wrapped_transform_configINS0_14default_configEjEEjPjS6_NS0_8identityIjEEEEvT1_mT2_T3_.private_seg_size, 0
	.set _ZN7rocprim17ROCPRIM_304000_NS6detail16transform_kernelINS1_24wrapped_transform_configINS0_14default_configEjEEjPjS6_NS0_8identityIjEEEEvT1_mT2_T3_.uses_vcc, 1
	.set _ZN7rocprim17ROCPRIM_304000_NS6detail16transform_kernelINS1_24wrapped_transform_configINS0_14default_configEjEEjPjS6_NS0_8identityIjEEEEvT1_mT2_T3_.uses_flat_scratch, 0
	.set _ZN7rocprim17ROCPRIM_304000_NS6detail16transform_kernelINS1_24wrapped_transform_configINS0_14default_configEjEEjPjS6_NS0_8identityIjEEEEvT1_mT2_T3_.has_dyn_sized_stack, 0
	.set _ZN7rocprim17ROCPRIM_304000_NS6detail16transform_kernelINS1_24wrapped_transform_configINS0_14default_configEjEEjPjS6_NS0_8identityIjEEEEvT1_mT2_T3_.has_recursion, 0
	.set _ZN7rocprim17ROCPRIM_304000_NS6detail16transform_kernelINS1_24wrapped_transform_configINS0_14default_configEjEEjPjS6_NS0_8identityIjEEEEvT1_mT2_T3_.has_indirect_call, 0
	.section	.AMDGPU.csdata,"",@progbits
; Kernel info:
; codeLenInByte = 408
; TotalNumSgprs: 16
; NumVgprs: 8
; ScratchSize: 0
; MemoryBound: 0
; FloatMode: 240
; IeeeMode: 1
; LDSByteSize: 0 bytes/workgroup (compile time only)
; SGPRBlocks: 1
; VGPRBlocks: 1
; NumSGPRsForWavesPerEU: 16
; NumVGPRsForWavesPerEU: 8
; Occupancy: 10
; WaveLimiterHint : 1
; COMPUTE_PGM_RSRC2:SCRATCH_EN: 0
; COMPUTE_PGM_RSRC2:USER_SGPR: 6
; COMPUTE_PGM_RSRC2:TRAP_HANDLER: 0
; COMPUTE_PGM_RSRC2:TGID_X_EN: 1
; COMPUTE_PGM_RSRC2:TGID_Y_EN: 0
; COMPUTE_PGM_RSRC2:TGID_Z_EN: 0
; COMPUTE_PGM_RSRC2:TIDIG_COMP_CNT: 0
	.section	.text._ZN7rocprim17ROCPRIM_304000_NS6detail16transform_kernelINS1_24wrapped_transform_configINS0_14default_configEN2at4cuda3cub6detail10OpaqueTypeILi8EEEEESA_PSA_SC_NS0_8identityISA_EEEEvT1_mT2_T3_,"axG",@progbits,_ZN7rocprim17ROCPRIM_304000_NS6detail16transform_kernelINS1_24wrapped_transform_configINS0_14default_configEN2at4cuda3cub6detail10OpaqueTypeILi8EEEEESA_PSA_SC_NS0_8identityISA_EEEEvT1_mT2_T3_,comdat
	.protected	_ZN7rocprim17ROCPRIM_304000_NS6detail16transform_kernelINS1_24wrapped_transform_configINS0_14default_configEN2at4cuda3cub6detail10OpaqueTypeILi8EEEEESA_PSA_SC_NS0_8identityISA_EEEEvT1_mT2_T3_ ; -- Begin function _ZN7rocprim17ROCPRIM_304000_NS6detail16transform_kernelINS1_24wrapped_transform_configINS0_14default_configEN2at4cuda3cub6detail10OpaqueTypeILi8EEEEESA_PSA_SC_NS0_8identityISA_EEEEvT1_mT2_T3_
	.globl	_ZN7rocprim17ROCPRIM_304000_NS6detail16transform_kernelINS1_24wrapped_transform_configINS0_14default_configEN2at4cuda3cub6detail10OpaqueTypeILi8EEEEESA_PSA_SC_NS0_8identityISA_EEEEvT1_mT2_T3_
	.p2align	8
	.type	_ZN7rocprim17ROCPRIM_304000_NS6detail16transform_kernelINS1_24wrapped_transform_configINS0_14default_configEN2at4cuda3cub6detail10OpaqueTypeILi8EEEEESA_PSA_SC_NS0_8identityISA_EEEEvT1_mT2_T3_,@function
_ZN7rocprim17ROCPRIM_304000_NS6detail16transform_kernelINS1_24wrapped_transform_configINS0_14default_configEN2at4cuda3cub6detail10OpaqueTypeILi8EEEEESA_PSA_SC_NS0_8identityISA_EEEEvT1_mT2_T3_: ; @_ZN7rocprim17ROCPRIM_304000_NS6detail16transform_kernelINS1_24wrapped_transform_configINS0_14default_configEN2at4cuda3cub6detail10OpaqueTypeILi8EEEEESA_PSA_SC_NS0_8identityISA_EEEEvT1_mT2_T3_
; %bb.0:
	s_load_dword s7, s[4:5], 0x20
	s_load_dwordx4 s[0:3], s[4:5], 0x0
	s_lshl_b32 s8, s6, 9
	s_waitcnt lgkmcnt(0)
	s_add_i32 s7, s7, -1
	s_cmp_lg_u32 s6, s7
	s_cselect_b64 s[6:7], -1, 0
	s_sub_i32 s2, s2, s8
	v_cmp_gt_u32_e32 vcc, s2, v0
	s_or_b64 s[2:3], vcc, s[6:7]
	s_and_saveexec_b64 s[6:7], s[2:3]
	s_cbranch_execz .LBB6_2
; %bb.1:
	s_load_dwordx2 s[2:3], s[4:5], 0x10
	s_mov_b32 s9, 0
	s_lshl_b64 s[4:5], s[8:9], 3
	v_lshlrev_b32_e32 v2, 3, v0
	s_waitcnt lgkmcnt(0)
	s_add_u32 s2, s2, s4
	s_addc_u32 s3, s3, s5
	s_add_u32 s0, s0, s4
	s_addc_u32 s1, s1, s5
	global_load_dwordx2 v[0:1], v2, s[0:1]
	s_waitcnt vmcnt(0)
	global_store_dwordx2 v2, v[0:1], s[2:3]
.LBB6_2:
	s_endpgm
	.section	.rodata,"a",@progbits
	.p2align	6, 0x0
	.amdhsa_kernel _ZN7rocprim17ROCPRIM_304000_NS6detail16transform_kernelINS1_24wrapped_transform_configINS0_14default_configEN2at4cuda3cub6detail10OpaqueTypeILi8EEEEESA_PSA_SC_NS0_8identityISA_EEEEvT1_mT2_T3_
		.amdhsa_group_segment_fixed_size 0
		.amdhsa_private_segment_fixed_size 0
		.amdhsa_kernarg_size 288
		.amdhsa_user_sgpr_count 6
		.amdhsa_user_sgpr_private_segment_buffer 1
		.amdhsa_user_sgpr_dispatch_ptr 0
		.amdhsa_user_sgpr_queue_ptr 0
		.amdhsa_user_sgpr_kernarg_segment_ptr 1
		.amdhsa_user_sgpr_dispatch_id 0
		.amdhsa_user_sgpr_flat_scratch_init 0
		.amdhsa_user_sgpr_private_segment_size 0
		.amdhsa_uses_dynamic_stack 0
		.amdhsa_system_sgpr_private_segment_wavefront_offset 0
		.amdhsa_system_sgpr_workgroup_id_x 1
		.amdhsa_system_sgpr_workgroup_id_y 0
		.amdhsa_system_sgpr_workgroup_id_z 0
		.amdhsa_system_sgpr_workgroup_info 0
		.amdhsa_system_vgpr_workitem_id 0
		.amdhsa_next_free_vgpr 3
		.amdhsa_next_free_sgpr 10
		.amdhsa_reserve_vcc 1
		.amdhsa_reserve_flat_scratch 0
		.amdhsa_float_round_mode_32 0
		.amdhsa_float_round_mode_16_64 0
		.amdhsa_float_denorm_mode_32 3
		.amdhsa_float_denorm_mode_16_64 3
		.amdhsa_dx10_clamp 1
		.amdhsa_ieee_mode 1
		.amdhsa_fp16_overflow 0
		.amdhsa_exception_fp_ieee_invalid_op 0
		.amdhsa_exception_fp_denorm_src 0
		.amdhsa_exception_fp_ieee_div_zero 0
		.amdhsa_exception_fp_ieee_overflow 0
		.amdhsa_exception_fp_ieee_underflow 0
		.amdhsa_exception_fp_ieee_inexact 0
		.amdhsa_exception_int_div_zero 0
	.end_amdhsa_kernel
	.section	.text._ZN7rocprim17ROCPRIM_304000_NS6detail16transform_kernelINS1_24wrapped_transform_configINS0_14default_configEN2at4cuda3cub6detail10OpaqueTypeILi8EEEEESA_PSA_SC_NS0_8identityISA_EEEEvT1_mT2_T3_,"axG",@progbits,_ZN7rocprim17ROCPRIM_304000_NS6detail16transform_kernelINS1_24wrapped_transform_configINS0_14default_configEN2at4cuda3cub6detail10OpaqueTypeILi8EEEEESA_PSA_SC_NS0_8identityISA_EEEEvT1_mT2_T3_,comdat
.Lfunc_end6:
	.size	_ZN7rocprim17ROCPRIM_304000_NS6detail16transform_kernelINS1_24wrapped_transform_configINS0_14default_configEN2at4cuda3cub6detail10OpaqueTypeILi8EEEEESA_PSA_SC_NS0_8identityISA_EEEEvT1_mT2_T3_, .Lfunc_end6-_ZN7rocprim17ROCPRIM_304000_NS6detail16transform_kernelINS1_24wrapped_transform_configINS0_14default_configEN2at4cuda3cub6detail10OpaqueTypeILi8EEEEESA_PSA_SC_NS0_8identityISA_EEEEvT1_mT2_T3_
                                        ; -- End function
	.set _ZN7rocprim17ROCPRIM_304000_NS6detail16transform_kernelINS1_24wrapped_transform_configINS0_14default_configEN2at4cuda3cub6detail10OpaqueTypeILi8EEEEESA_PSA_SC_NS0_8identityISA_EEEEvT1_mT2_T3_.num_vgpr, 3
	.set _ZN7rocprim17ROCPRIM_304000_NS6detail16transform_kernelINS1_24wrapped_transform_configINS0_14default_configEN2at4cuda3cub6detail10OpaqueTypeILi8EEEEESA_PSA_SC_NS0_8identityISA_EEEEvT1_mT2_T3_.num_agpr, 0
	.set _ZN7rocprim17ROCPRIM_304000_NS6detail16transform_kernelINS1_24wrapped_transform_configINS0_14default_configEN2at4cuda3cub6detail10OpaqueTypeILi8EEEEESA_PSA_SC_NS0_8identityISA_EEEEvT1_mT2_T3_.numbered_sgpr, 10
	.set _ZN7rocprim17ROCPRIM_304000_NS6detail16transform_kernelINS1_24wrapped_transform_configINS0_14default_configEN2at4cuda3cub6detail10OpaqueTypeILi8EEEEESA_PSA_SC_NS0_8identityISA_EEEEvT1_mT2_T3_.num_named_barrier, 0
	.set _ZN7rocprim17ROCPRIM_304000_NS6detail16transform_kernelINS1_24wrapped_transform_configINS0_14default_configEN2at4cuda3cub6detail10OpaqueTypeILi8EEEEESA_PSA_SC_NS0_8identityISA_EEEEvT1_mT2_T3_.private_seg_size, 0
	.set _ZN7rocprim17ROCPRIM_304000_NS6detail16transform_kernelINS1_24wrapped_transform_configINS0_14default_configEN2at4cuda3cub6detail10OpaqueTypeILi8EEEEESA_PSA_SC_NS0_8identityISA_EEEEvT1_mT2_T3_.uses_vcc, 1
	.set _ZN7rocprim17ROCPRIM_304000_NS6detail16transform_kernelINS1_24wrapped_transform_configINS0_14default_configEN2at4cuda3cub6detail10OpaqueTypeILi8EEEEESA_PSA_SC_NS0_8identityISA_EEEEvT1_mT2_T3_.uses_flat_scratch, 0
	.set _ZN7rocprim17ROCPRIM_304000_NS6detail16transform_kernelINS1_24wrapped_transform_configINS0_14default_configEN2at4cuda3cub6detail10OpaqueTypeILi8EEEEESA_PSA_SC_NS0_8identityISA_EEEEvT1_mT2_T3_.has_dyn_sized_stack, 0
	.set _ZN7rocprim17ROCPRIM_304000_NS6detail16transform_kernelINS1_24wrapped_transform_configINS0_14default_configEN2at4cuda3cub6detail10OpaqueTypeILi8EEEEESA_PSA_SC_NS0_8identityISA_EEEEvT1_mT2_T3_.has_recursion, 0
	.set _ZN7rocprim17ROCPRIM_304000_NS6detail16transform_kernelINS1_24wrapped_transform_configINS0_14default_configEN2at4cuda3cub6detail10OpaqueTypeILi8EEEEESA_PSA_SC_NS0_8identityISA_EEEEvT1_mT2_T3_.has_indirect_call, 0
	.section	.AMDGPU.csdata,"",@progbits
; Kernel info:
; codeLenInByte = 120
; TotalNumSgprs: 14
; NumVgprs: 3
; ScratchSize: 0
; MemoryBound: 0
; FloatMode: 240
; IeeeMode: 1
; LDSByteSize: 0 bytes/workgroup (compile time only)
; SGPRBlocks: 1
; VGPRBlocks: 0
; NumSGPRsForWavesPerEU: 14
; NumVGPRsForWavesPerEU: 3
; Occupancy: 10
; WaveLimiterHint : 0
; COMPUTE_PGM_RSRC2:SCRATCH_EN: 0
; COMPUTE_PGM_RSRC2:USER_SGPR: 6
; COMPUTE_PGM_RSRC2:TRAP_HANDLER: 0
; COMPUTE_PGM_RSRC2:TGID_X_EN: 1
; COMPUTE_PGM_RSRC2:TGID_Y_EN: 0
; COMPUTE_PGM_RSRC2:TGID_Z_EN: 0
; COMPUTE_PGM_RSRC2:TIDIG_COMP_CNT: 0
	.section	.text._ZN7rocprim17ROCPRIM_304000_NS6detail45device_block_merge_mergepath_partition_kernelINS1_37wrapped_merge_sort_block_merge_configINS0_14default_configEjN2at4cuda3cub6detail10OpaqueTypeILi8EEEEEPjjNS1_19radix_merge_compareILb1ELb1EjNS0_19identity_decomposerEEEEEvT0_T1_jPSH_T2_SH_,"axG",@progbits,_ZN7rocprim17ROCPRIM_304000_NS6detail45device_block_merge_mergepath_partition_kernelINS1_37wrapped_merge_sort_block_merge_configINS0_14default_configEjN2at4cuda3cub6detail10OpaqueTypeILi8EEEEEPjjNS1_19radix_merge_compareILb1ELb1EjNS0_19identity_decomposerEEEEEvT0_T1_jPSH_T2_SH_,comdat
	.protected	_ZN7rocprim17ROCPRIM_304000_NS6detail45device_block_merge_mergepath_partition_kernelINS1_37wrapped_merge_sort_block_merge_configINS0_14default_configEjN2at4cuda3cub6detail10OpaqueTypeILi8EEEEEPjjNS1_19radix_merge_compareILb1ELb1EjNS0_19identity_decomposerEEEEEvT0_T1_jPSH_T2_SH_ ; -- Begin function _ZN7rocprim17ROCPRIM_304000_NS6detail45device_block_merge_mergepath_partition_kernelINS1_37wrapped_merge_sort_block_merge_configINS0_14default_configEjN2at4cuda3cub6detail10OpaqueTypeILi8EEEEEPjjNS1_19radix_merge_compareILb1ELb1EjNS0_19identity_decomposerEEEEEvT0_T1_jPSH_T2_SH_
	.globl	_ZN7rocprim17ROCPRIM_304000_NS6detail45device_block_merge_mergepath_partition_kernelINS1_37wrapped_merge_sort_block_merge_configINS0_14default_configEjN2at4cuda3cub6detail10OpaqueTypeILi8EEEEEPjjNS1_19radix_merge_compareILb1ELb1EjNS0_19identity_decomposerEEEEEvT0_T1_jPSH_T2_SH_
	.p2align	8
	.type	_ZN7rocprim17ROCPRIM_304000_NS6detail45device_block_merge_mergepath_partition_kernelINS1_37wrapped_merge_sort_block_merge_configINS0_14default_configEjN2at4cuda3cub6detail10OpaqueTypeILi8EEEEEPjjNS1_19radix_merge_compareILb1ELb1EjNS0_19identity_decomposerEEEEEvT0_T1_jPSH_T2_SH_,@function
_ZN7rocprim17ROCPRIM_304000_NS6detail45device_block_merge_mergepath_partition_kernelINS1_37wrapped_merge_sort_block_merge_configINS0_14default_configEjN2at4cuda3cub6detail10OpaqueTypeILi8EEEEEPjjNS1_19radix_merge_compareILb1ELb1EjNS0_19identity_decomposerEEEEEvT0_T1_jPSH_T2_SH_: ; @_ZN7rocprim17ROCPRIM_304000_NS6detail45device_block_merge_mergepath_partition_kernelINS1_37wrapped_merge_sort_block_merge_configINS0_14default_configEjN2at4cuda3cub6detail10OpaqueTypeILi8EEEEEPjjNS1_19radix_merge_compareILb1ELb1EjNS0_19identity_decomposerEEEEEvT0_T1_jPSH_T2_SH_
; %bb.0:
	s_load_dwordx2 s[2:3], s[4:5], 0x8
	v_lshl_or_b32 v0, s6, 7, v0
	s_waitcnt lgkmcnt(0)
	v_cmp_gt_u32_e32 vcc, s3, v0
	s_and_saveexec_b64 s[0:1], vcc
	s_cbranch_execz .LBB7_6
; %bb.1:
	s_load_dwordx2 s[0:1], s[4:5], 0x18
	s_waitcnt lgkmcnt(0)
	s_lshr_b32 s3, s1, 8
	s_and_b32 s3, s3, 0xfffffe
	s_add_i32 s6, s3, -1
	s_sub_i32 s3, 0, s3
	v_and_b32_e32 v1, s3, v0
	v_lshlrev_b32_e32 v3, 9, v1
	v_min_u32_e32 v1, s2, v3
	v_add_u32_e32 v3, s1, v3
	v_min_u32_e32 v3, s2, v3
	v_add_u32_e32 v4, s1, v3
	v_and_b32_e32 v2, s6, v0
	v_min_u32_e32 v4, s2, v4
	v_lshlrev_b32_e32 v2, 9, v2
	v_sub_u32_e32 v5, v4, v1
	v_min_u32_e32 v6, v5, v2
	v_sub_u32_e32 v2, v3, v1
	v_sub_u32_e32 v4, v4, v3
	v_sub_u32_e64 v5, v6, v4 clamp
	v_min_u32_e32 v7, v6, v2
	v_cmp_lt_u32_e32 vcc, v5, v7
	s_and_saveexec_b64 s[2:3], vcc
	s_cbranch_execz .LBB7_5
; %bb.2:
	s_load_dwordx2 s[6:7], s[4:5], 0x0
	v_mov_b32_e32 v4, 0
	v_mov_b32_e32 v2, v4
	v_lshlrev_b64 v[8:9], 2, v[1:2]
	s_waitcnt lgkmcnt(0)
	v_mov_b32_e32 v11, s7
	v_add_co_u32_e32 v2, vcc, s6, v8
	v_addc_co_u32_e32 v8, vcc, v11, v9, vcc
	v_lshlrev_b64 v[9:10], 2, v[3:4]
	v_add_co_u32_e32 v9, vcc, s6, v9
	v_addc_co_u32_e32 v10, vcc, v11, v10, vcc
	s_mov_b64 s[6:7], 0
.LBB7_3:                                ; =>This Inner Loop Header: Depth=1
	v_add_u32_e32 v3, v7, v5
	v_lshrrev_b32_e32 v3, 1, v3
	v_lshlrev_b64 v[13:14], 2, v[3:4]
	v_mov_b32_e32 v12, v4
	v_xad_u32 v11, v3, -1, v6
	v_lshlrev_b64 v[11:12], 2, v[11:12]
	v_add_co_u32_e32 v13, vcc, v2, v13
	v_addc_co_u32_e32 v14, vcc, v8, v14, vcc
	v_add_co_u32_e32 v11, vcc, v9, v11
	v_addc_co_u32_e32 v12, vcc, v10, v12, vcc
	global_load_dword v15, v[13:14], off
	global_load_dword v16, v[11:12], off
	v_add_u32_e32 v11, 1, v3
	s_waitcnt vmcnt(1)
	v_and_b32_e32 v12, s0, v15
	s_waitcnt vmcnt(0)
	v_and_b32_e32 v13, s0, v16
	v_cmp_gt_u32_e32 vcc, v13, v12
	v_cndmask_b32_e32 v7, v7, v3, vcc
	v_cndmask_b32_e32 v5, v11, v5, vcc
	v_cmp_ge_u32_e32 vcc, v5, v7
	s_or_b64 s[6:7], vcc, s[6:7]
	s_andn2_b64 exec, exec, s[6:7]
	s_cbranch_execnz .LBB7_3
; %bb.4:
	s_or_b64 exec, exec, s[6:7]
.LBB7_5:
	s_or_b64 exec, exec, s[2:3]
	s_load_dwordx2 s[0:1], s[4:5], 0x10
	v_add_u32_e32 v2, v5, v1
	v_mov_b32_e32 v1, 0
	v_lshlrev_b64 v[0:1], 2, v[0:1]
	s_waitcnt lgkmcnt(0)
	v_mov_b32_e32 v3, s1
	v_add_co_u32_e32 v0, vcc, s0, v0
	v_addc_co_u32_e32 v1, vcc, v3, v1, vcc
	global_store_dword v[0:1], v2, off
.LBB7_6:
	s_endpgm
	.section	.rodata,"a",@progbits
	.p2align	6, 0x0
	.amdhsa_kernel _ZN7rocprim17ROCPRIM_304000_NS6detail45device_block_merge_mergepath_partition_kernelINS1_37wrapped_merge_sort_block_merge_configINS0_14default_configEjN2at4cuda3cub6detail10OpaqueTypeILi8EEEEEPjjNS1_19radix_merge_compareILb1ELb1EjNS0_19identity_decomposerEEEEEvT0_T1_jPSH_T2_SH_
		.amdhsa_group_segment_fixed_size 0
		.amdhsa_private_segment_fixed_size 0
		.amdhsa_kernarg_size 32
		.amdhsa_user_sgpr_count 6
		.amdhsa_user_sgpr_private_segment_buffer 1
		.amdhsa_user_sgpr_dispatch_ptr 0
		.amdhsa_user_sgpr_queue_ptr 0
		.amdhsa_user_sgpr_kernarg_segment_ptr 1
		.amdhsa_user_sgpr_dispatch_id 0
		.amdhsa_user_sgpr_flat_scratch_init 0
		.amdhsa_user_sgpr_private_segment_size 0
		.amdhsa_uses_dynamic_stack 0
		.amdhsa_system_sgpr_private_segment_wavefront_offset 0
		.amdhsa_system_sgpr_workgroup_id_x 1
		.amdhsa_system_sgpr_workgroup_id_y 0
		.amdhsa_system_sgpr_workgroup_id_z 0
		.amdhsa_system_sgpr_workgroup_info 0
		.amdhsa_system_vgpr_workitem_id 0
		.amdhsa_next_free_vgpr 17
		.amdhsa_next_free_sgpr 8
		.amdhsa_reserve_vcc 1
		.amdhsa_reserve_flat_scratch 0
		.amdhsa_float_round_mode_32 0
		.amdhsa_float_round_mode_16_64 0
		.amdhsa_float_denorm_mode_32 3
		.amdhsa_float_denorm_mode_16_64 3
		.amdhsa_dx10_clamp 1
		.amdhsa_ieee_mode 1
		.amdhsa_fp16_overflow 0
		.amdhsa_exception_fp_ieee_invalid_op 0
		.amdhsa_exception_fp_denorm_src 0
		.amdhsa_exception_fp_ieee_div_zero 0
		.amdhsa_exception_fp_ieee_overflow 0
		.amdhsa_exception_fp_ieee_underflow 0
		.amdhsa_exception_fp_ieee_inexact 0
		.amdhsa_exception_int_div_zero 0
	.end_amdhsa_kernel
	.section	.text._ZN7rocprim17ROCPRIM_304000_NS6detail45device_block_merge_mergepath_partition_kernelINS1_37wrapped_merge_sort_block_merge_configINS0_14default_configEjN2at4cuda3cub6detail10OpaqueTypeILi8EEEEEPjjNS1_19radix_merge_compareILb1ELb1EjNS0_19identity_decomposerEEEEEvT0_T1_jPSH_T2_SH_,"axG",@progbits,_ZN7rocprim17ROCPRIM_304000_NS6detail45device_block_merge_mergepath_partition_kernelINS1_37wrapped_merge_sort_block_merge_configINS0_14default_configEjN2at4cuda3cub6detail10OpaqueTypeILi8EEEEEPjjNS1_19radix_merge_compareILb1ELb1EjNS0_19identity_decomposerEEEEEvT0_T1_jPSH_T2_SH_,comdat
.Lfunc_end7:
	.size	_ZN7rocprim17ROCPRIM_304000_NS6detail45device_block_merge_mergepath_partition_kernelINS1_37wrapped_merge_sort_block_merge_configINS0_14default_configEjN2at4cuda3cub6detail10OpaqueTypeILi8EEEEEPjjNS1_19radix_merge_compareILb1ELb1EjNS0_19identity_decomposerEEEEEvT0_T1_jPSH_T2_SH_, .Lfunc_end7-_ZN7rocprim17ROCPRIM_304000_NS6detail45device_block_merge_mergepath_partition_kernelINS1_37wrapped_merge_sort_block_merge_configINS0_14default_configEjN2at4cuda3cub6detail10OpaqueTypeILi8EEEEEPjjNS1_19radix_merge_compareILb1ELb1EjNS0_19identity_decomposerEEEEEvT0_T1_jPSH_T2_SH_
                                        ; -- End function
	.set _ZN7rocprim17ROCPRIM_304000_NS6detail45device_block_merge_mergepath_partition_kernelINS1_37wrapped_merge_sort_block_merge_configINS0_14default_configEjN2at4cuda3cub6detail10OpaqueTypeILi8EEEEEPjjNS1_19radix_merge_compareILb1ELb1EjNS0_19identity_decomposerEEEEEvT0_T1_jPSH_T2_SH_.num_vgpr, 17
	.set _ZN7rocprim17ROCPRIM_304000_NS6detail45device_block_merge_mergepath_partition_kernelINS1_37wrapped_merge_sort_block_merge_configINS0_14default_configEjN2at4cuda3cub6detail10OpaqueTypeILi8EEEEEPjjNS1_19radix_merge_compareILb1ELb1EjNS0_19identity_decomposerEEEEEvT0_T1_jPSH_T2_SH_.num_agpr, 0
	.set _ZN7rocprim17ROCPRIM_304000_NS6detail45device_block_merge_mergepath_partition_kernelINS1_37wrapped_merge_sort_block_merge_configINS0_14default_configEjN2at4cuda3cub6detail10OpaqueTypeILi8EEEEEPjjNS1_19radix_merge_compareILb1ELb1EjNS0_19identity_decomposerEEEEEvT0_T1_jPSH_T2_SH_.numbered_sgpr, 8
	.set _ZN7rocprim17ROCPRIM_304000_NS6detail45device_block_merge_mergepath_partition_kernelINS1_37wrapped_merge_sort_block_merge_configINS0_14default_configEjN2at4cuda3cub6detail10OpaqueTypeILi8EEEEEPjjNS1_19radix_merge_compareILb1ELb1EjNS0_19identity_decomposerEEEEEvT0_T1_jPSH_T2_SH_.num_named_barrier, 0
	.set _ZN7rocprim17ROCPRIM_304000_NS6detail45device_block_merge_mergepath_partition_kernelINS1_37wrapped_merge_sort_block_merge_configINS0_14default_configEjN2at4cuda3cub6detail10OpaqueTypeILi8EEEEEPjjNS1_19radix_merge_compareILb1ELb1EjNS0_19identity_decomposerEEEEEvT0_T1_jPSH_T2_SH_.private_seg_size, 0
	.set _ZN7rocprim17ROCPRIM_304000_NS6detail45device_block_merge_mergepath_partition_kernelINS1_37wrapped_merge_sort_block_merge_configINS0_14default_configEjN2at4cuda3cub6detail10OpaqueTypeILi8EEEEEPjjNS1_19radix_merge_compareILb1ELb1EjNS0_19identity_decomposerEEEEEvT0_T1_jPSH_T2_SH_.uses_vcc, 1
	.set _ZN7rocprim17ROCPRIM_304000_NS6detail45device_block_merge_mergepath_partition_kernelINS1_37wrapped_merge_sort_block_merge_configINS0_14default_configEjN2at4cuda3cub6detail10OpaqueTypeILi8EEEEEPjjNS1_19radix_merge_compareILb1ELb1EjNS0_19identity_decomposerEEEEEvT0_T1_jPSH_T2_SH_.uses_flat_scratch, 0
	.set _ZN7rocprim17ROCPRIM_304000_NS6detail45device_block_merge_mergepath_partition_kernelINS1_37wrapped_merge_sort_block_merge_configINS0_14default_configEjN2at4cuda3cub6detail10OpaqueTypeILi8EEEEEPjjNS1_19radix_merge_compareILb1ELb1EjNS0_19identity_decomposerEEEEEvT0_T1_jPSH_T2_SH_.has_dyn_sized_stack, 0
	.set _ZN7rocprim17ROCPRIM_304000_NS6detail45device_block_merge_mergepath_partition_kernelINS1_37wrapped_merge_sort_block_merge_configINS0_14default_configEjN2at4cuda3cub6detail10OpaqueTypeILi8EEEEEPjjNS1_19radix_merge_compareILb1ELb1EjNS0_19identity_decomposerEEEEEvT0_T1_jPSH_T2_SH_.has_recursion, 0
	.set _ZN7rocprim17ROCPRIM_304000_NS6detail45device_block_merge_mergepath_partition_kernelINS1_37wrapped_merge_sort_block_merge_configINS0_14default_configEjN2at4cuda3cub6detail10OpaqueTypeILi8EEEEEPjjNS1_19radix_merge_compareILb1ELb1EjNS0_19identity_decomposerEEEEEvT0_T1_jPSH_T2_SH_.has_indirect_call, 0
	.section	.AMDGPU.csdata,"",@progbits
; Kernel info:
; codeLenInByte = 376
; TotalNumSgprs: 12
; NumVgprs: 17
; ScratchSize: 0
; MemoryBound: 0
; FloatMode: 240
; IeeeMode: 1
; LDSByteSize: 0 bytes/workgroup (compile time only)
; SGPRBlocks: 1
; VGPRBlocks: 4
; NumSGPRsForWavesPerEU: 12
; NumVGPRsForWavesPerEU: 17
; Occupancy: 10
; WaveLimiterHint : 0
; COMPUTE_PGM_RSRC2:SCRATCH_EN: 0
; COMPUTE_PGM_RSRC2:USER_SGPR: 6
; COMPUTE_PGM_RSRC2:TRAP_HANDLER: 0
; COMPUTE_PGM_RSRC2:TGID_X_EN: 1
; COMPUTE_PGM_RSRC2:TGID_Y_EN: 0
; COMPUTE_PGM_RSRC2:TGID_Z_EN: 0
; COMPUTE_PGM_RSRC2:TIDIG_COMP_CNT: 0
	.section	.text._ZN7rocprim17ROCPRIM_304000_NS6detail35device_block_merge_mergepath_kernelINS1_37wrapped_merge_sort_block_merge_configINS0_14default_configEjN2at4cuda3cub6detail10OpaqueTypeILi8EEEEEPjSC_PSA_SD_jNS1_19radix_merge_compareILb1ELb1EjNS0_19identity_decomposerEEEEEvT0_T1_T2_T3_T4_SL_jT5_PKSL_NS1_7vsmem_tE,"axG",@progbits,_ZN7rocprim17ROCPRIM_304000_NS6detail35device_block_merge_mergepath_kernelINS1_37wrapped_merge_sort_block_merge_configINS0_14default_configEjN2at4cuda3cub6detail10OpaqueTypeILi8EEEEEPjSC_PSA_SD_jNS1_19radix_merge_compareILb1ELb1EjNS0_19identity_decomposerEEEEEvT0_T1_T2_T3_T4_SL_jT5_PKSL_NS1_7vsmem_tE,comdat
	.protected	_ZN7rocprim17ROCPRIM_304000_NS6detail35device_block_merge_mergepath_kernelINS1_37wrapped_merge_sort_block_merge_configINS0_14default_configEjN2at4cuda3cub6detail10OpaqueTypeILi8EEEEEPjSC_PSA_SD_jNS1_19radix_merge_compareILb1ELb1EjNS0_19identity_decomposerEEEEEvT0_T1_T2_T3_T4_SL_jT5_PKSL_NS1_7vsmem_tE ; -- Begin function _ZN7rocprim17ROCPRIM_304000_NS6detail35device_block_merge_mergepath_kernelINS1_37wrapped_merge_sort_block_merge_configINS0_14default_configEjN2at4cuda3cub6detail10OpaqueTypeILi8EEEEEPjSC_PSA_SD_jNS1_19radix_merge_compareILb1ELb1EjNS0_19identity_decomposerEEEEEvT0_T1_T2_T3_T4_SL_jT5_PKSL_NS1_7vsmem_tE
	.globl	_ZN7rocprim17ROCPRIM_304000_NS6detail35device_block_merge_mergepath_kernelINS1_37wrapped_merge_sort_block_merge_configINS0_14default_configEjN2at4cuda3cub6detail10OpaqueTypeILi8EEEEEPjSC_PSA_SD_jNS1_19radix_merge_compareILb1ELb1EjNS0_19identity_decomposerEEEEEvT0_T1_T2_T3_T4_SL_jT5_PKSL_NS1_7vsmem_tE
	.p2align	8
	.type	_ZN7rocprim17ROCPRIM_304000_NS6detail35device_block_merge_mergepath_kernelINS1_37wrapped_merge_sort_block_merge_configINS0_14default_configEjN2at4cuda3cub6detail10OpaqueTypeILi8EEEEEPjSC_PSA_SD_jNS1_19radix_merge_compareILb1ELb1EjNS0_19identity_decomposerEEEEEvT0_T1_T2_T3_T4_SL_jT5_PKSL_NS1_7vsmem_tE,@function
_ZN7rocprim17ROCPRIM_304000_NS6detail35device_block_merge_mergepath_kernelINS1_37wrapped_merge_sort_block_merge_configINS0_14default_configEjN2at4cuda3cub6detail10OpaqueTypeILi8EEEEEPjSC_PSA_SD_jNS1_19radix_merge_compareILb1ELb1EjNS0_19identity_decomposerEEEEEvT0_T1_T2_T3_T4_SL_jT5_PKSL_NS1_7vsmem_tE: ; @_ZN7rocprim17ROCPRIM_304000_NS6detail35device_block_merge_mergepath_kernelINS1_37wrapped_merge_sort_block_merge_configINS0_14default_configEjN2at4cuda3cub6detail10OpaqueTypeILi8EEEEEPjSC_PSA_SD_jNS1_19radix_merge_compareILb1ELb1EjNS0_19identity_decomposerEEEEEvT0_T1_T2_T3_T4_SL_jT5_PKSL_NS1_7vsmem_tE
; %bb.0:
	s_load_dwordx2 s[26:27], s[4:5], 0x40
	s_load_dwordx4 s[16:19], s[4:5], 0x20
	s_add_u32 s2, s4, 64
	s_addc_u32 s3, s5, 0
	s_waitcnt lgkmcnt(0)
	s_mul_i32 s0, s27, s8
	s_add_i32 s0, s0, s7
	s_mul_i32 s0, s0, s26
	s_add_i32 s0, s0, s6
	s_cmp_ge_u32 s0, s18
	s_cbranch_scc1 .LBB8_69
; %bb.1:
	s_load_dwordx8 s[8:15], s[4:5], 0x0
	s_load_dwordx2 s[22:23], s[4:5], 0x30
	s_lshr_b32 s27, s16, 9
	s_cmp_lg_u32 s0, s27
	s_mov_b32 s1, 0
	s_cselect_b64 s[20:21], -1, 0
	s_lshl_b64 s[4:5], s[0:1], 2
	s_waitcnt lgkmcnt(0)
	s_add_u32 s4, s22, s4
	s_addc_u32 s5, s23, s5
	s_load_dwordx2 s[22:23], s[4:5], 0x0
	s_lshr_b32 s4, s17, 8
	s_and_b32 s4, s4, 0xfffffe
	s_sub_i32 s4, 0, s4
	s_and_b32 s5, s0, s4
	s_lshl_b32 s7, s5, 9
	s_lshl_b32 s18, s0, 9
	;; [unrolled: 1-line block ×3, first 2 shown]
	s_sub_i32 s24, s18, s7
	s_add_i32 s5, s5, s17
	s_add_i32 s25, s5, s24
	s_waitcnt lgkmcnt(0)
	s_sub_i32 s24, s25, s22
	s_sub_i32 s25, s25, s23
	s_sub_i32 s5, s5, s7
	s_min_u32 s24, s16, s24
	s_addk_i32 s25, 0x200
	s_or_b32 s4, s0, s4
	s_min_u32 s7, s16, s5
	s_add_i32 s5, s5, s17
	s_cmp_eq_u32 s4, -1
	s_cselect_b32 s4, s5, s25
	s_cselect_b32 s5, s7, s23
	s_min_u32 s4, s4, s16
	s_mov_b32 s23, s1
	s_sub_i32 s28, s5, s22
	s_sub_i32 s29, s4, s24
	s_lshl_b64 s[30:31], s[22:23], 2
	s_add_u32 s5, s8, s30
	s_mov_b32 s25, s1
	s_addc_u32 s7, s9, s31
	s_lshl_b64 s[30:31], s[24:25], 2
	s_add_u32 s4, s8, s30
	v_mov_b32_e32 v6, 0
	global_load_dword v1, v6, s[2:3] offset:14
	s_addc_u32 s8, s9, s31
	s_cmp_lt_u32 s6, s26
	s_cselect_b32 s1, 12, 18
	s_add_u32 s2, s2, s1
	s_addc_u32 s3, s3, 0
	global_load_ushort v2, v6, s[2:3]
	s_cmp_eq_u32 s0, s27
	v_cmp_gt_u32_e32 vcc, s28, v0
	v_lshlrev_b32_e32 v9, 2, v0
	s_waitcnt vmcnt(1)
	v_lshrrev_b32_e32 v3, 16, v1
	v_and_b32_e32 v1, 0xffff, v1
	v_mul_lo_u32 v1, v1, v3
	s_waitcnt vmcnt(0)
	v_mul_lo_u32 v7, v1, v2
	v_add_u32_e32 v5, v7, v0
	s_cbranch_scc1 .LBB8_3
; %bb.2:
	v_mov_b32_e32 v1, s7
	v_add_co_u32_e64 v3, s[0:1], s5, v9
	v_subrev_u32_e32 v2, s28, v0
	v_addc_co_u32_e64 v1, s[0:1], 0, v1, s[0:1]
	v_lshlrev_b32_e32 v2, 2, v2
	v_mov_b32_e32 v4, s8
	v_add_co_u32_e64 v8, s[0:1], s4, v2
	v_addc_co_u32_e64 v2, s[0:1], 0, v4, s[0:1]
	v_cndmask_b32_e32 v2, v2, v1, vcc
	v_cndmask_b32_e32 v1, v8, v3, vcc
	global_load_dword v1, v[1:2], off
	v_lshlrev_b64 v[2:3], 2, v[5:6]
	v_mov_b32_e32 v4, s7
	v_add_co_u32_e32 v8, vcc, s5, v2
	v_addc_co_u32_e32 v4, vcc, v4, v3, vcc
	v_subrev_co_u32_e32 v2, vcc, s28, v5
	v_mov_b32_e32 v3, v6
	v_lshlrev_b64 v[2:3], 2, v[2:3]
	v_mov_b32_e32 v10, s8
	v_add_co_u32_e64 v2, s[0:1], s4, v2
	v_addc_co_u32_e64 v3, s[0:1], v10, v3, s[0:1]
	v_cndmask_b32_e32 v3, v3, v4, vcc
	v_cndmask_b32_e32 v2, v2, v8, vcc
	v_add_u32_e32 v10, v5, v7
	v_mov_b32_e32 v11, v6
	global_load_dword v2, v[2:3], off
	v_lshlrev_b64 v[3:4], 2, v[10:11]
	v_mov_b32_e32 v8, s7
	v_add_co_u32_e32 v11, vcc, s5, v3
	v_addc_co_u32_e32 v8, vcc, v8, v4, vcc
	v_subrev_co_u32_e32 v3, vcc, s28, v10
	v_mov_b32_e32 v4, v6
	v_lshlrev_b64 v[3:4], 2, v[3:4]
	v_mov_b32_e32 v12, s8
	v_add_co_u32_e64 v3, s[0:1], s4, v3
	v_cndmask_b32_e32 v3, v3, v11, vcc
	v_add_u32_e32 v10, v10, v7
	v_mov_b32_e32 v11, v6
	v_addc_co_u32_e64 v4, s[0:1], v12, v4, s[0:1]
	v_lshlrev_b64 v[11:12], 2, v[10:11]
	v_cndmask_b32_e32 v4, v4, v8, vcc
	global_load_dword v3, v[3:4], off
	v_mov_b32_e32 v4, s7
	v_add_co_u32_e32 v8, vcc, s5, v11
	v_addc_co_u32_e32 v4, vcc, v4, v12, vcc
	v_subrev_co_u32_e32 v10, vcc, s28, v10
	v_mov_b32_e32 v11, v6
	v_lshlrev_b64 v[10:11], 2, v[10:11]
	v_mov_b32_e32 v6, s8
	v_add_co_u32_e64 v10, s[0:1], s4, v10
	v_addc_co_u32_e64 v6, s[0:1], v6, v11, s[0:1]
	v_cndmask_b32_e32 v11, v6, v4, vcc
	v_cndmask_b32_e32 v10, v10, v8, vcc
	global_load_dword v4, v[10:11], off
	s_add_i32 s17, s29, s28
	s_cbranch_execz .LBB8_4
	s_branch .LBB8_13
.LBB8_3:
                                        ; implicit-def: $vgpr1_vgpr2_vgpr3_vgpr4
                                        ; implicit-def: $sgpr17
.LBB8_4:
	s_add_i32 s17, s29, s28
	s_waitcnt vmcnt(3)
	v_mov_b32_e32 v1, 0
	v_cmp_gt_u32_e32 vcc, s17, v0
	s_waitcnt vmcnt(2)
	v_mov_b32_e32 v2, v1
	s_waitcnt vmcnt(1)
	v_mov_b32_e32 v3, v1
	;; [unrolled: 2-line block ×3, first 2 shown]
	s_and_saveexec_b64 s[0:1], vcc
	s_cbranch_execz .LBB8_6
; %bb.5:
	v_mov_b32_e32 v2, s7
	v_add_co_u32_e32 v4, vcc, s5, v9
	v_subrev_u32_e32 v3, s28, v0
	v_addc_co_u32_e32 v2, vcc, 0, v2, vcc
	v_lshlrev_b32_e32 v3, 2, v3
	v_mov_b32_e32 v6, s8
	v_add_co_u32_e32 v8, vcc, s4, v3
	v_addc_co_u32_e32 v3, vcc, 0, v6, vcc
	v_cmp_gt_u32_e32 vcc, s28, v0
	v_cndmask_b32_e32 v3, v3, v2, vcc
	v_cndmask_b32_e32 v2, v8, v4, vcc
	global_load_dword v10, v[2:3], off
	v_mov_b32_e32 v11, v1
	v_mov_b32_e32 v12, v1
	;; [unrolled: 1-line block ×3, first 2 shown]
	s_waitcnt vmcnt(0)
	v_mov_b32_e32 v1, v10
	v_mov_b32_e32 v2, v11
	;; [unrolled: 1-line block ×4, first 2 shown]
.LBB8_6:
	s_or_b64 exec, exec, s[0:1]
	v_cmp_gt_u32_e32 vcc, s17, v5
	s_and_saveexec_b64 s[2:3], vcc
	s_cbranch_execz .LBB8_8
; %bb.7:
	v_mov_b32_e32 v6, 0
	v_lshlrev_b64 v[10:11], 2, v[5:6]
	v_mov_b32_e32 v2, s7
	v_add_co_u32_e32 v8, vcc, s5, v10
	v_addc_co_u32_e32 v2, vcc, v2, v11, vcc
	v_subrev_co_u32_e32 v10, vcc, s28, v5
	v_mov_b32_e32 v11, v6
	v_lshlrev_b64 v[10:11], 2, v[10:11]
	v_mov_b32_e32 v6, s8
	v_add_co_u32_e64 v10, s[0:1], s4, v10
	v_addc_co_u32_e64 v6, s[0:1], v6, v11, s[0:1]
	v_cndmask_b32_e32 v11, v6, v2, vcc
	v_cndmask_b32_e32 v10, v10, v8, vcc
	global_load_dword v2, v[10:11], off
.LBB8_8:
	s_or_b64 exec, exec, s[2:3]
	v_add_u32_e32 v5, v5, v7
	v_cmp_gt_u32_e32 vcc, s17, v5
	s_and_saveexec_b64 s[2:3], vcc
	s_cbranch_execz .LBB8_10
; %bb.9:
	v_mov_b32_e32 v6, 0
	v_lshlrev_b64 v[10:11], 2, v[5:6]
	v_mov_b32_e32 v3, s7
	v_add_co_u32_e32 v8, vcc, s5, v10
	v_addc_co_u32_e32 v3, vcc, v3, v11, vcc
	v_subrev_co_u32_e32 v10, vcc, s28, v5
	v_mov_b32_e32 v11, v6
	v_lshlrev_b64 v[10:11], 2, v[10:11]
	v_mov_b32_e32 v6, s8
	v_add_co_u32_e64 v10, s[0:1], s4, v10
	v_addc_co_u32_e64 v6, s[0:1], v6, v11, s[0:1]
	v_cndmask_b32_e32 v11, v6, v3, vcc
	v_cndmask_b32_e32 v10, v10, v8, vcc
	global_load_dword v3, v[10:11], off
.LBB8_10:
	s_or_b64 exec, exec, s[2:3]
	v_add_u32_e32 v5, v5, v7
	v_cmp_gt_u32_e32 vcc, s17, v5
	s_and_saveexec_b64 s[2:3], vcc
	s_cbranch_execz .LBB8_12
; %bb.11:
	v_mov_b32_e32 v6, 0
	v_lshlrev_b64 v[7:8], 2, v[5:6]
	v_mov_b32_e32 v4, s7
	v_add_co_u32_e32 v7, vcc, s5, v7
	v_addc_co_u32_e32 v8, vcc, v4, v8, vcc
	v_subrev_co_u32_e32 v5, vcc, s28, v5
	v_lshlrev_b64 v[4:5], 2, v[5:6]
	v_mov_b32_e32 v6, s8
	v_add_co_u32_e64 v4, s[0:1], s4, v4
	v_addc_co_u32_e64 v5, s[0:1], v6, v5, s[0:1]
	v_cndmask_b32_e32 v5, v5, v8, vcc
	v_cndmask_b32_e32 v4, v4, v7, vcc
	global_load_dword v4, v[4:5], off
.LBB8_12:
	s_or_b64 exec, exec, s[2:3]
.LBB8_13:
	v_min_u32_e32 v6, s17, v9
	v_sub_u32_e64 v5, v6, s29 clamp
	v_min_u32_e32 v7, s28, v6
	v_cmp_lt_u32_e32 vcc, v5, v7
	s_waitcnt vmcnt(0)
	ds_write2st64_b32 v9, v1, v2 offset1:2
	ds_write2st64_b32 v9, v3, v4 offset0:4 offset1:6
	s_waitcnt lgkmcnt(0)
	s_barrier
	s_and_saveexec_b64 s[0:1], vcc
	s_cbranch_execz .LBB8_17
; %bb.14:
	v_lshlrev_b32_e32 v8, 2, v6
	v_lshl_add_u32 v8, s28, 2, v8
	s_mov_b64 s[2:3], 0
.LBB8_15:                               ; =>This Inner Loop Header: Depth=1
	v_add_u32_e32 v10, v7, v5
	v_lshrrev_b32_e32 v10, 1, v10
	v_not_b32_e32 v11, v10
	v_lshlrev_b32_e32 v12, 2, v10
	v_lshl_add_u32 v11, v11, 2, v8
	ds_read_b32 v12, v12
	ds_read_b32 v11, v11
	v_add_u32_e32 v13, 1, v10
	s_waitcnt lgkmcnt(1)
	v_and_b32_e32 v12, s19, v12
	s_waitcnt lgkmcnt(0)
	v_and_b32_e32 v11, s19, v11
	v_cmp_gt_u32_e32 vcc, v11, v12
	v_cndmask_b32_e32 v7, v7, v10, vcc
	v_cndmask_b32_e32 v5, v13, v5, vcc
	v_cmp_ge_u32_e32 vcc, v5, v7
	s_or_b64 s[2:3], vcc, s[2:3]
	s_andn2_b64 exec, exec, s[2:3]
	s_cbranch_execnz .LBB8_15
; %bb.16:
	s_or_b64 exec, exec, s[2:3]
.LBB8_17:
	s_or_b64 exec, exec, s[0:1]
	v_sub_u32_e32 v6, v6, v5
	v_add_u32_e32 v6, s28, v6
	v_cmp_ge_u32_e32 vcc, s28, v5
	v_cmp_ge_u32_e64 s[0:1], s17, v6
	s_or_b64 s[0:1], vcc, s[0:1]
	v_mov_b32_e32 v10, 0
	v_mov_b32_e32 v11, 0
	;; [unrolled: 1-line block ×4, first 2 shown]
	s_and_saveexec_b64 s[8:9], s[0:1]
	s_cbranch_execz .LBB8_23
; %bb.18:
	v_cmp_gt_u32_e32 vcc, s28, v5
                                        ; implicit-def: $vgpr1
	s_and_saveexec_b64 s[0:1], vcc
; %bb.19:
	v_lshlrev_b32_e32 v1, 2, v5
	ds_read_b32 v1, v1
; %bb.20:
	s_or_b64 exec, exec, s[0:1]
	v_cmp_le_u32_e64 s[0:1], s17, v6
	v_cmp_gt_u32_e64 s[2:3], s17, v6
                                        ; implicit-def: $vgpr2
	s_and_saveexec_b64 s[4:5], s[2:3]
; %bb.21:
	v_lshlrev_b32_e32 v2, 2, v6
	ds_read_b32 v2, v2
; %bb.22:
	s_or_b64 exec, exec, s[4:5]
	s_waitcnt lgkmcnt(0)
	v_and_b32_e32 v3, s19, v2
	v_and_b32_e32 v4, s19, v1
	v_cmp_le_u32_e64 s[2:3], v3, v4
	s_and_b64 s[2:3], vcc, s[2:3]
	s_or_b64 vcc, s[0:1], s[2:3]
	v_mov_b32_e32 v3, s17
	v_mov_b32_e32 v4, s28
	v_cndmask_b32_e32 v13, v6, v5, vcc
	v_cndmask_b32_e32 v7, v3, v4, vcc
	v_add_u32_e32 v8, 1, v13
	v_add_u32_e32 v7, -1, v7
	v_min_u32_e32 v7, v8, v7
	v_lshlrev_b32_e32 v7, 2, v7
	ds_read_b32 v7, v7
	v_cndmask_b32_e32 v6, v8, v6, vcc
	v_cndmask_b32_e32 v5, v5, v8, vcc
	v_cmp_gt_u32_e64 s[2:3], s28, v5
	v_cmp_le_u32_e64 s[0:1], s17, v6
	s_waitcnt lgkmcnt(0)
	v_cndmask_b32_e32 v10, v7, v2, vcc
	v_cndmask_b32_e32 v7, v1, v7, vcc
	v_and_b32_e32 v8, s19, v10
	v_and_b32_e32 v11, s19, v7
	v_cmp_le_u32_e64 s[4:5], v8, v11
	s_and_b64 s[2:3], s[2:3], s[4:5]
	s_or_b64 s[0:1], s[0:1], s[2:3]
	v_cndmask_b32_e64 v12, v6, v5, s[0:1]
	v_cndmask_b32_e64 v8, v3, v4, s[0:1]
	v_add_u32_e32 v11, 1, v12
	v_add_u32_e32 v8, -1, v8
	v_min_u32_e32 v8, v11, v8
	v_lshlrev_b32_e32 v8, 2, v8
	ds_read_b32 v8, v8
	v_cndmask_b32_e64 v6, v11, v6, s[0:1]
	v_cndmask_b32_e64 v5, v5, v11, s[0:1]
	v_cmp_gt_u32_e64 s[4:5], s28, v5
	v_cmp_le_u32_e64 s[2:3], s17, v6
	s_waitcnt lgkmcnt(0)
	v_cndmask_b32_e64 v14, v8, v10, s[0:1]
	v_cndmask_b32_e64 v8, v7, v8, s[0:1]
	v_and_b32_e32 v11, s19, v14
	v_and_b32_e32 v15, s19, v8
	v_cmp_le_u32_e64 s[6:7], v11, v15
	s_and_b64 s[4:5], s[4:5], s[6:7]
	s_or_b64 s[2:3], s[2:3], s[4:5]
	v_cndmask_b32_e64 v11, v6, v5, s[2:3]
	v_cndmask_b32_e64 v3, v3, v4, s[2:3]
	v_add_u32_e32 v4, 1, v11
	v_add_u32_e32 v3, -1, v3
	v_min_u32_e32 v3, v4, v3
	v_lshlrev_b32_e32 v3, 2, v3
	ds_read_b32 v15, v3
	v_cndmask_b32_e32 v1, v2, v1, vcc
	v_cndmask_b32_e64 v2, v10, v7, s[0:1]
	v_cndmask_b32_e64 v3, v14, v8, s[2:3]
	;; [unrolled: 1-line block ×3, first 2 shown]
	s_waitcnt lgkmcnt(0)
	v_cndmask_b32_e64 v7, v15, v14, s[2:3]
	v_cndmask_b32_e64 v8, v8, v15, s[2:3]
	;; [unrolled: 1-line block ×3, first 2 shown]
	v_and_b32_e32 v5, s19, v7
	v_and_b32_e32 v10, s19, v8
	v_cmp_gt_u32_e64 s[0:1], s28, v4
	v_cmp_le_u32_e64 s[2:3], v5, v10
	v_cmp_le_u32_e32 vcc, s17, v6
	s_and_b64 s[0:1], s[0:1], s[2:3]
	s_or_b64 vcc, vcc, s[0:1]
	v_cndmask_b32_e32 v10, v6, v4, vcc
	v_cndmask_b32_e32 v4, v7, v8, vcc
.LBB8_23:
	s_or_b64 exec, exec, s[8:9]
	s_lshl_b64 s[0:1], s[22:23], 3
	s_add_u32 s8, s12, s0
	s_addc_u32 s9, s13, s1
	s_lshl_b64 s[0:1], s[24:25], 3
	s_add_u32 s6, s12, s0
	v_cndmask_b32_e64 v5, 0, 1, s[20:21]
	s_addc_u32 s7, s13, s1
	v_cmp_gt_u32_e64 s[4:5], s28, v0
	v_cmp_ne_u32_e64 s[0:1], 1, v5
	s_andn2_b64 vcc, exec, s[20:21]
	v_cmp_le_u32_e64 s[2:3], s28, v0
	s_barrier
	s_cbranch_vccnz .LBB8_25
; %bb.24:
	v_lshlrev_b32_e32 v8, 3, v0
	v_mov_b32_e32 v5, s9
	v_add_co_u32_e32 v7, vcc, s8, v8
	v_subrev_u32_e32 v6, s28, v0
	v_addc_co_u32_e32 v5, vcc, 0, v5, vcc
	v_lshlrev_b32_e32 v6, 3, v6
	v_mov_b32_e32 v14, s7
	v_add_co_u32_e32 v15, vcc, s6, v6
	v_addc_co_u32_e32 v6, vcc, 0, v14, vcc
	v_cndmask_b32_e64 v6, v6, v5, s[4:5]
	v_cndmask_b32_e64 v5, v15, v7, s[4:5]
	global_load_dwordx2 v[15:16], v[5:6], off
	v_or_b32_e32 v5, 0x80, v0
	v_subrev_u32_e32 v6, s28, v5
	v_min_u32_e32 v6, v5, v6
	v_cmp_gt_u32_e32 vcc, s28, v5
	v_mov_b32_e32 v22, s6
	v_mov_b32_e32 v23, s8
	;; [unrolled: 1-line block ×4, first 2 shown]
	v_cndmask_b32_e32 v5, v22, v23, vcc
	v_lshlrev_b32_e32 v6, 3, v6
	v_cndmask_b32_e32 v14, v7, v21, vcc
	v_add_co_u32_e32 v5, vcc, v5, v6
	v_addc_co_u32_e32 v6, vcc, 0, v14, vcc
	global_load_dwordx2 v[17:18], v[5:6], off
	v_or_b32_e32 v5, 0x100, v0
	v_subrev_u32_e32 v6, s28, v5
	v_min_u32_e32 v6, v5, v6
	v_cmp_gt_u32_e32 vcc, s28, v5
	v_cndmask_b32_e32 v5, v22, v23, vcc
	v_lshlrev_b32_e32 v6, 3, v6
	v_cndmask_b32_e32 v14, v7, v21, vcc
	v_add_co_u32_e32 v5, vcc, v5, v6
	v_addc_co_u32_e32 v6, vcc, 0, v14, vcc
	global_load_dwordx2 v[19:20], v[5:6], off
	v_or_b32_e32 v14, 0x180, v0
	v_subrev_u32_e32 v5, s28, v14
	v_cmp_gt_u32_e32 vcc, s28, v14
	v_cndmask_b32_e32 v6, v7, v21, vcc
	v_min_u32_e32 v7, v14, v5
	v_cndmask_b32_e32 v5, v22, v23, vcc
	s_mov_b64 s[4:5], -1
	s_waitcnt vmcnt(1)
	ds_write2st64_b64 v8, v[15:16], v[17:18] offset1:2
	s_waitcnt vmcnt(0)
	ds_write_b64 v8, v[19:20] offset:2048
	s_cbranch_execz .LBB8_26
	s_branch .LBB8_43
.LBB8_25:
	s_mov_b64 s[4:5], 0
                                        ; implicit-def: $vgpr14
                                        ; implicit-def: $vgpr5_vgpr6
                                        ; implicit-def: $vgpr7
.LBB8_26:
	s_and_saveexec_b64 s[4:5], s[2:3]
	s_xor_b64 s[2:3], exec, s[4:5]
	s_cbranch_execz .LBB8_30
; %bb.27:
	v_subrev_u32_e32 v5, s28, v0
	v_cmp_gt_u32_e32 vcc, s29, v5
	s_and_saveexec_b64 s[4:5], vcc
	s_cbranch_execz .LBB8_29
; %bb.28:
	v_lshlrev_b32_e32 v5, 3, v5
	global_load_dwordx2 v[5:6], v5, s[6:7]
	v_add_u32_e32 v7, v9, v9
	s_waitcnt vmcnt(0)
	ds_write_b64 v7, v[5:6]
.LBB8_29:
	s_or_b64 exec, exec, s[4:5]
.LBB8_30:
	s_or_saveexec_b64 s[2:3], s[2:3]
	v_add_u32_e32 v7, v9, v9
	s_xor_b64 exec, exec, s[2:3]
	s_cbranch_execz .LBB8_32
; %bb.31:
	v_lshlrev_b32_e32 v5, 3, v0
	global_load_dwordx2 v[5:6], v5, s[8:9]
	s_waitcnt vmcnt(0)
	ds_write_b64 v7, v[5:6]
.LBB8_32:
	s_or_b64 exec, exec, s[2:3]
	v_or_b32_e32 v8, 0x80, v0
	v_mov_b32_e32 v5, s22
	v_cmp_le_u32_e32 vcc, s28, v8
	s_mov_b64 s[2:3], -1
	v_mov_b32_e32 v6, s23
	s_and_saveexec_b64 s[4:5], vcc
; %bb.33:
	v_subrev_u32_e32 v8, s28, v8
	v_cmp_gt_u32_e32 vcc, s29, v8
	v_mov_b32_e32 v5, s24
	v_mov_b32_e32 v6, s25
	s_orn2_b64 s[2:3], vcc, exec
; %bb.34:
	s_or_b64 exec, exec, s[4:5]
	s_and_saveexec_b64 s[4:5], s[2:3]
	s_cbranch_execz .LBB8_36
; %bb.35:
	v_lshlrev_b64 v[5:6], 3, v[5:6]
	v_mov_b32_e32 v14, s13
	v_add_co_u32_e32 v5, vcc, s12, v5
	v_addc_co_u32_e32 v6, vcc, v14, v6, vcc
	v_lshlrev_b32_e32 v8, 3, v8
	v_add_co_u32_e32 v5, vcc, v5, v8
	v_addc_co_u32_e32 v6, vcc, 0, v6, vcc
	global_load_dwordx2 v[5:6], v[5:6], off
	s_waitcnt vmcnt(0)
	ds_write_b64 v7, v[5:6] offset:1024
.LBB8_36:
	s_or_b64 exec, exec, s[4:5]
	v_or_b32_e32 v8, 0x100, v0
	v_mov_b32_e32 v5, s22
	v_cmp_le_u32_e32 vcc, s28, v8
	s_mov_b64 s[2:3], -1
	v_mov_b32_e32 v6, s23
	s_and_saveexec_b64 s[4:5], vcc
; %bb.37:
	v_subrev_u32_e32 v8, s28, v8
	v_cmp_gt_u32_e32 vcc, s29, v8
	v_mov_b32_e32 v5, s24
	v_mov_b32_e32 v6, s25
	s_orn2_b64 s[2:3], vcc, exec
; %bb.38:
	s_or_b64 exec, exec, s[4:5]
	s_and_saveexec_b64 s[4:5], s[2:3]
	s_cbranch_execz .LBB8_40
; %bb.39:
	v_lshlrev_b64 v[5:6], 3, v[5:6]
	v_mov_b32_e32 v14, s13
	v_add_co_u32_e32 v5, vcc, s12, v5
	v_addc_co_u32_e32 v6, vcc, v14, v6, vcc
	v_lshlrev_b32_e32 v8, 3, v8
	v_add_co_u32_e32 v5, vcc, v5, v8
	v_addc_co_u32_e32 v6, vcc, 0, v6, vcc
	global_load_dwordx2 v[5:6], v[5:6], off
	s_waitcnt vmcnt(0)
	ds_write_b64 v7, v[5:6] offset:2048
.LBB8_40:
	s_or_b64 exec, exec, s[4:5]
	v_or_b32_e32 v14, 0x180, v0
	v_mov_b32_e32 v5, s8
	v_cmp_le_u32_e32 vcc, s28, v14
	s_mov_b64 s[4:5], -1
	v_mov_b32_e32 v6, s9
	v_mov_b32_e32 v7, v14
	s_and_saveexec_b64 s[2:3], vcc
; %bb.41:
	v_subrev_u32_e32 v7, s28, v14
	v_cmp_gt_u32_e32 vcc, s29, v7
	v_mov_b32_e32 v5, s6
	v_mov_b32_e32 v6, s7
	s_orn2_b64 s[4:5], vcc, exec
; %bb.42:
	s_or_b64 exec, exec, s[2:3]
.LBB8_43:
	s_and_saveexec_b64 s[2:3], s[4:5]
	s_cbranch_execz .LBB8_45
; %bb.44:
	v_mov_b32_e32 v8, 0
	v_lshlrev_b64 v[7:8], 3, v[7:8]
	v_add_co_u32_e32 v5, vcc, v5, v7
	v_addc_co_u32_e32 v6, vcc, v6, v8, vcc
	global_load_dwordx2 v[5:6], v[5:6], off
	v_lshlrev_b32_e32 v7, 3, v14
	s_waitcnt vmcnt(0)
	ds_write_b64 v7, v[5:6]
.LBB8_45:
	s_or_b64 exec, exec, s[2:3]
	s_and_b64 vcc, exec, s[0:1]
	v_add_u32_e32 v5, s18, v9
	s_waitcnt lgkmcnt(0)
	s_barrier
	s_cbranch_vccnz .LBB8_47
; %bb.46:
	v_lshlrev_b32_e32 v14, 3, v13
	v_lshlrev_b32_e32 v16, 3, v12
	;; [unrolled: 1-line block ×3, first 2 shown]
	v_mov_b32_e32 v6, 0
	ds_read_b64 v[14:15], v14
	ds_read_b64 v[16:17], v16
	;; [unrolled: 1-line block ×3, first 2 shown]
	v_lshlrev_b64 v[7:8], 3, v[5:6]
	v_mov_b32_e32 v20, s15
	v_add_co_u32_e32 v7, vcc, s14, v7
	v_addc_co_u32_e32 v8, vcc, v20, v8, vcc
	s_mov_b64 s[0:1], -1
	s_waitcnt lgkmcnt(1)
	global_store_dwordx4 v[7:8], v[14:17], off
	s_waitcnt lgkmcnt(0)
	global_store_dwordx2 v[7:8], v[18:19], off offset:16
	s_cbranch_execz .LBB8_48
	s_branch .LBB8_57
.LBB8_47:
	s_mov_b64 s[0:1], 0
.LBB8_48:
	v_cmp_gt_u32_e32 vcc, s17, v9
	s_and_saveexec_b64 s[2:3], vcc
	s_cbranch_execz .LBB8_50
; %bb.49:
	v_lshlrev_b32_e32 v8, 3, v13
	v_mov_b32_e32 v6, 0
	ds_read_b64 v[13:14], v8
	v_lshlrev_b64 v[6:7], 3, v[5:6]
	v_mov_b32_e32 v15, s15
	v_add_co_u32_e32 v6, vcc, s14, v6
	v_addc_co_u32_e32 v7, vcc, v15, v7, vcc
	s_waitcnt lgkmcnt(0)
	global_store_dwordx2 v[6:7], v[13:14], off
.LBB8_50:
	s_or_b64 exec, exec, s[2:3]
	v_or_b32_e32 v6, 1, v9
	v_cmp_gt_u32_e32 vcc, s17, v6
	s_and_saveexec_b64 s[2:3], vcc
	s_cbranch_execz .LBB8_52
; %bb.51:
	v_lshlrev_b32_e32 v8, 3, v12
	v_mov_b32_e32 v6, 0
	ds_read_b64 v[12:13], v8
	v_lshlrev_b64 v[6:7], 3, v[5:6]
	v_mov_b32_e32 v14, s15
	v_add_co_u32_e32 v6, vcc, s14, v6
	v_addc_co_u32_e32 v7, vcc, v14, v7, vcc
	s_waitcnt lgkmcnt(0)
	global_store_dwordx2 v[6:7], v[12:13], off offset:8
.LBB8_52:
	s_or_b64 exec, exec, s[2:3]
	v_or_b32_e32 v6, 2, v9
	v_cmp_gt_u32_e32 vcc, s17, v6
	s_and_saveexec_b64 s[2:3], vcc
	s_cbranch_execz .LBB8_54
; %bb.53:
	v_lshlrev_b32_e32 v8, 3, v11
	v_mov_b32_e32 v6, 0
	ds_read_b64 v[11:12], v8
	v_lshlrev_b64 v[6:7], 3, v[5:6]
	v_mov_b32_e32 v13, s15
	v_add_co_u32_e32 v6, vcc, s14, v6
	v_addc_co_u32_e32 v7, vcc, v13, v7, vcc
	s_waitcnt lgkmcnt(0)
	global_store_dwordx2 v[6:7], v[11:12], off offset:16
.LBB8_54:
	s_or_b64 exec, exec, s[2:3]
	v_or_b32_e32 v6, 3, v9
	v_cmp_gt_u32_e32 vcc, s17, v6
	s_and_saveexec_b64 s[2:3], vcc
; %bb.55:
	v_mov_b32_e32 v6, 0
	s_or_b64 s[0:1], s[0:1], exec
; %bb.56:
	s_or_b64 exec, exec, s[2:3]
.LBB8_57:
	s_and_saveexec_b64 s[2:3], s[0:1]
	s_cbranch_execz .LBB8_59
; %bb.58:
	v_lshlrev_b32_e32 v7, 3, v10
	ds_read_b64 v[7:8], v7
	v_lshlrev_b64 v[5:6], 3, v[5:6]
	v_mov_b32_e32 v10, s15
	v_add_co_u32_e32 v5, vcc, s14, v5
	v_addc_co_u32_e32 v6, vcc, v10, v6, vcc
	s_waitcnt lgkmcnt(0)
	global_store_dwordx2 v[5:6], v[7:8], off offset:24
.LBB8_59:
	s_or_b64 exec, exec, s[2:3]
	v_lshrrev_b32_e32 v5, 3, v0
	v_lshlrev_b32_e32 v6, 2, v9
	v_lshl_add_u32 v6, v5, 2, v6
	s_waitcnt vmcnt(0)
	s_barrier
	s_barrier
	ds_write2_b32 v6, v1, v2 offset1:1
	ds_write2_b32 v6, v3, v4 offset0:2 offset1:3
	v_and_b32_e32 v1, 12, v5
	v_or_b32_e32 v5, 0x80, v0
	v_add_u32_e32 v7, v1, v9
	v_lshrrev_b32_e32 v1, 3, v5
	v_and_b32_e32 v1, 28, v1
	v_or_b32_e32 v4, 0x100, v0
	s_mov_b32 s19, 0
	v_add_u32_e32 v8, v1, v9
	v_lshrrev_b32_e32 v1, 3, v4
	s_lshl_b64 s[0:1], s[18:19], 2
	v_and_b32_e32 v1, 44, v1
	v_or_b32_e32 v3, 0x180, v0
	s_add_u32 s0, s10, s0
	v_add_u32_e32 v10, v1, v9
	v_lshrrev_b32_e32 v1, 3, v3
	s_addc_u32 s1, s11, s1
	v_and_b32_e32 v1, 60, v1
	v_add_u32_e32 v11, v1, v9
	v_mov_b32_e32 v2, s1
	v_add_co_u32_e32 v1, vcc, s0, v9
	v_addc_co_u32_e32 v2, vcc, 0, v2, vcc
	s_and_b64 vcc, exec, s[20:21]
	s_waitcnt lgkmcnt(0)
	s_cbranch_vccz .LBB8_61
; %bb.60:
	s_barrier
	ds_read_b32 v9, v7
	ds_read_b32 v12, v8 offset:512
	ds_read_b32 v13, v10 offset:1024
	;; [unrolled: 1-line block ×3, first 2 shown]
	s_waitcnt lgkmcnt(3)
	global_store_dword v[1:2], v9, off
	s_waitcnt lgkmcnt(2)
	global_store_dword v[1:2], v12, off offset:512
	s_waitcnt lgkmcnt(1)
	global_store_dword v[1:2], v13, off offset:1024
	s_mov_b64 s[0:1], -1
	s_cbranch_execz .LBB8_62
	s_branch .LBB8_67
.LBB8_61:
	s_mov_b64 s[0:1], 0
                                        ; implicit-def: $vgpr6
.LBB8_62:
	s_waitcnt vmcnt(0) lgkmcnt(0)
	s_barrier
	ds_read_b32 v9, v8 offset:512
	ds_read_b32 v8, v10 offset:1024
	;; [unrolled: 1-line block ×3, first 2 shown]
	s_sub_i32 s2, s16, s18
	v_cmp_gt_u32_e32 vcc, s2, v0
	s_and_saveexec_b64 s[0:1], vcc
	s_cbranch_execnz .LBB8_70
; %bb.63:
	s_or_b64 exec, exec, s[0:1]
	v_cmp_gt_u32_e32 vcc, s2, v5
	s_and_saveexec_b64 s[0:1], vcc
	s_cbranch_execnz .LBB8_71
.LBB8_64:
	s_or_b64 exec, exec, s[0:1]
	v_cmp_gt_u32_e32 vcc, s2, v4
	s_and_saveexec_b64 s[0:1], vcc
	s_cbranch_execz .LBB8_66
.LBB8_65:
	s_waitcnt lgkmcnt(1)
	global_store_dword v[1:2], v8, off offset:1024
.LBB8_66:
	s_or_b64 exec, exec, s[0:1]
	v_cmp_gt_u32_e64 s[0:1], s2, v3
.LBB8_67:
	s_and_saveexec_b64 s[2:3], s[0:1]
	s_cbranch_execz .LBB8_69
; %bb.68:
	s_waitcnt lgkmcnt(0)
	global_store_dword v[1:2], v6, off offset:1536
.LBB8_69:
	s_endpgm
.LBB8_70:
	ds_read_b32 v0, v7
	s_waitcnt lgkmcnt(0)
	global_store_dword v[1:2], v0, off
	s_or_b64 exec, exec, s[0:1]
	v_cmp_gt_u32_e32 vcc, s2, v5
	s_and_saveexec_b64 s[0:1], vcc
	s_cbranch_execz .LBB8_64
.LBB8_71:
	s_waitcnt lgkmcnt(2)
	global_store_dword v[1:2], v9, off offset:512
	s_or_b64 exec, exec, s[0:1]
	v_cmp_gt_u32_e32 vcc, s2, v4
	s_and_saveexec_b64 s[0:1], vcc
	s_cbranch_execnz .LBB8_65
	s_branch .LBB8_66
	.section	.rodata,"a",@progbits
	.p2align	6, 0x0
	.amdhsa_kernel _ZN7rocprim17ROCPRIM_304000_NS6detail35device_block_merge_mergepath_kernelINS1_37wrapped_merge_sort_block_merge_configINS0_14default_configEjN2at4cuda3cub6detail10OpaqueTypeILi8EEEEEPjSC_PSA_SD_jNS1_19radix_merge_compareILb1ELb1EjNS0_19identity_decomposerEEEEEvT0_T1_T2_T3_T4_SL_jT5_PKSL_NS1_7vsmem_tE
		.amdhsa_group_segment_fixed_size 4112
		.amdhsa_private_segment_fixed_size 0
		.amdhsa_kernarg_size 320
		.amdhsa_user_sgpr_count 6
		.amdhsa_user_sgpr_private_segment_buffer 1
		.amdhsa_user_sgpr_dispatch_ptr 0
		.amdhsa_user_sgpr_queue_ptr 0
		.amdhsa_user_sgpr_kernarg_segment_ptr 1
		.amdhsa_user_sgpr_dispatch_id 0
		.amdhsa_user_sgpr_flat_scratch_init 0
		.amdhsa_user_sgpr_private_segment_size 0
		.amdhsa_uses_dynamic_stack 0
		.amdhsa_system_sgpr_private_segment_wavefront_offset 0
		.amdhsa_system_sgpr_workgroup_id_x 1
		.amdhsa_system_sgpr_workgroup_id_y 1
		.amdhsa_system_sgpr_workgroup_id_z 1
		.amdhsa_system_sgpr_workgroup_info 0
		.amdhsa_system_vgpr_workitem_id 0
		.amdhsa_next_free_vgpr 29
		.amdhsa_next_free_sgpr 61
		.amdhsa_reserve_vcc 1
		.amdhsa_reserve_flat_scratch 0
		.amdhsa_float_round_mode_32 0
		.amdhsa_float_round_mode_16_64 0
		.amdhsa_float_denorm_mode_32 3
		.amdhsa_float_denorm_mode_16_64 3
		.amdhsa_dx10_clamp 1
		.amdhsa_ieee_mode 1
		.amdhsa_fp16_overflow 0
		.amdhsa_exception_fp_ieee_invalid_op 0
		.amdhsa_exception_fp_denorm_src 0
		.amdhsa_exception_fp_ieee_div_zero 0
		.amdhsa_exception_fp_ieee_overflow 0
		.amdhsa_exception_fp_ieee_underflow 0
		.amdhsa_exception_fp_ieee_inexact 0
		.amdhsa_exception_int_div_zero 0
	.end_amdhsa_kernel
	.section	.text._ZN7rocprim17ROCPRIM_304000_NS6detail35device_block_merge_mergepath_kernelINS1_37wrapped_merge_sort_block_merge_configINS0_14default_configEjN2at4cuda3cub6detail10OpaqueTypeILi8EEEEEPjSC_PSA_SD_jNS1_19radix_merge_compareILb1ELb1EjNS0_19identity_decomposerEEEEEvT0_T1_T2_T3_T4_SL_jT5_PKSL_NS1_7vsmem_tE,"axG",@progbits,_ZN7rocprim17ROCPRIM_304000_NS6detail35device_block_merge_mergepath_kernelINS1_37wrapped_merge_sort_block_merge_configINS0_14default_configEjN2at4cuda3cub6detail10OpaqueTypeILi8EEEEEPjSC_PSA_SD_jNS1_19radix_merge_compareILb1ELb1EjNS0_19identity_decomposerEEEEEvT0_T1_T2_T3_T4_SL_jT5_PKSL_NS1_7vsmem_tE,comdat
.Lfunc_end8:
	.size	_ZN7rocprim17ROCPRIM_304000_NS6detail35device_block_merge_mergepath_kernelINS1_37wrapped_merge_sort_block_merge_configINS0_14default_configEjN2at4cuda3cub6detail10OpaqueTypeILi8EEEEEPjSC_PSA_SD_jNS1_19radix_merge_compareILb1ELb1EjNS0_19identity_decomposerEEEEEvT0_T1_T2_T3_T4_SL_jT5_PKSL_NS1_7vsmem_tE, .Lfunc_end8-_ZN7rocprim17ROCPRIM_304000_NS6detail35device_block_merge_mergepath_kernelINS1_37wrapped_merge_sort_block_merge_configINS0_14default_configEjN2at4cuda3cub6detail10OpaqueTypeILi8EEEEEPjSC_PSA_SD_jNS1_19radix_merge_compareILb1ELb1EjNS0_19identity_decomposerEEEEEvT0_T1_T2_T3_T4_SL_jT5_PKSL_NS1_7vsmem_tE
                                        ; -- End function
	.set _ZN7rocprim17ROCPRIM_304000_NS6detail35device_block_merge_mergepath_kernelINS1_37wrapped_merge_sort_block_merge_configINS0_14default_configEjN2at4cuda3cub6detail10OpaqueTypeILi8EEEEEPjSC_PSA_SD_jNS1_19radix_merge_compareILb1ELb1EjNS0_19identity_decomposerEEEEEvT0_T1_T2_T3_T4_SL_jT5_PKSL_NS1_7vsmem_tE.num_vgpr, 24
	.set _ZN7rocprim17ROCPRIM_304000_NS6detail35device_block_merge_mergepath_kernelINS1_37wrapped_merge_sort_block_merge_configINS0_14default_configEjN2at4cuda3cub6detail10OpaqueTypeILi8EEEEEPjSC_PSA_SD_jNS1_19radix_merge_compareILb1ELb1EjNS0_19identity_decomposerEEEEEvT0_T1_T2_T3_T4_SL_jT5_PKSL_NS1_7vsmem_tE.num_agpr, 0
	.set _ZN7rocprim17ROCPRIM_304000_NS6detail35device_block_merge_mergepath_kernelINS1_37wrapped_merge_sort_block_merge_configINS0_14default_configEjN2at4cuda3cub6detail10OpaqueTypeILi8EEEEEPjSC_PSA_SD_jNS1_19radix_merge_compareILb1ELb1EjNS0_19identity_decomposerEEEEEvT0_T1_T2_T3_T4_SL_jT5_PKSL_NS1_7vsmem_tE.numbered_sgpr, 32
	.set _ZN7rocprim17ROCPRIM_304000_NS6detail35device_block_merge_mergepath_kernelINS1_37wrapped_merge_sort_block_merge_configINS0_14default_configEjN2at4cuda3cub6detail10OpaqueTypeILi8EEEEEPjSC_PSA_SD_jNS1_19radix_merge_compareILb1ELb1EjNS0_19identity_decomposerEEEEEvT0_T1_T2_T3_T4_SL_jT5_PKSL_NS1_7vsmem_tE.num_named_barrier, 0
	.set _ZN7rocprim17ROCPRIM_304000_NS6detail35device_block_merge_mergepath_kernelINS1_37wrapped_merge_sort_block_merge_configINS0_14default_configEjN2at4cuda3cub6detail10OpaqueTypeILi8EEEEEPjSC_PSA_SD_jNS1_19radix_merge_compareILb1ELb1EjNS0_19identity_decomposerEEEEEvT0_T1_T2_T3_T4_SL_jT5_PKSL_NS1_7vsmem_tE.private_seg_size, 0
	.set _ZN7rocprim17ROCPRIM_304000_NS6detail35device_block_merge_mergepath_kernelINS1_37wrapped_merge_sort_block_merge_configINS0_14default_configEjN2at4cuda3cub6detail10OpaqueTypeILi8EEEEEPjSC_PSA_SD_jNS1_19radix_merge_compareILb1ELb1EjNS0_19identity_decomposerEEEEEvT0_T1_T2_T3_T4_SL_jT5_PKSL_NS1_7vsmem_tE.uses_vcc, 1
	.set _ZN7rocprim17ROCPRIM_304000_NS6detail35device_block_merge_mergepath_kernelINS1_37wrapped_merge_sort_block_merge_configINS0_14default_configEjN2at4cuda3cub6detail10OpaqueTypeILi8EEEEEPjSC_PSA_SD_jNS1_19radix_merge_compareILb1ELb1EjNS0_19identity_decomposerEEEEEvT0_T1_T2_T3_T4_SL_jT5_PKSL_NS1_7vsmem_tE.uses_flat_scratch, 0
	.set _ZN7rocprim17ROCPRIM_304000_NS6detail35device_block_merge_mergepath_kernelINS1_37wrapped_merge_sort_block_merge_configINS0_14default_configEjN2at4cuda3cub6detail10OpaqueTypeILi8EEEEEPjSC_PSA_SD_jNS1_19radix_merge_compareILb1ELb1EjNS0_19identity_decomposerEEEEEvT0_T1_T2_T3_T4_SL_jT5_PKSL_NS1_7vsmem_tE.has_dyn_sized_stack, 0
	.set _ZN7rocprim17ROCPRIM_304000_NS6detail35device_block_merge_mergepath_kernelINS1_37wrapped_merge_sort_block_merge_configINS0_14default_configEjN2at4cuda3cub6detail10OpaqueTypeILi8EEEEEPjSC_PSA_SD_jNS1_19radix_merge_compareILb1ELb1EjNS0_19identity_decomposerEEEEEvT0_T1_T2_T3_T4_SL_jT5_PKSL_NS1_7vsmem_tE.has_recursion, 0
	.set _ZN7rocprim17ROCPRIM_304000_NS6detail35device_block_merge_mergepath_kernelINS1_37wrapped_merge_sort_block_merge_configINS0_14default_configEjN2at4cuda3cub6detail10OpaqueTypeILi8EEEEEPjSC_PSA_SD_jNS1_19radix_merge_compareILb1ELb1EjNS0_19identity_decomposerEEEEEvT0_T1_T2_T3_T4_SL_jT5_PKSL_NS1_7vsmem_tE.has_indirect_call, 0
	.section	.AMDGPU.csdata,"",@progbits
; Kernel info:
; codeLenInByte = 3316
; TotalNumSgprs: 36
; NumVgprs: 24
; ScratchSize: 0
; MemoryBound: 0
; FloatMode: 240
; IeeeMode: 1
; LDSByteSize: 4112 bytes/workgroup (compile time only)
; SGPRBlocks: 8
; VGPRBlocks: 7
; NumSGPRsForWavesPerEU: 65
; NumVGPRsForWavesPerEU: 29
; Occupancy: 8
; WaveLimiterHint : 1
; COMPUTE_PGM_RSRC2:SCRATCH_EN: 0
; COMPUTE_PGM_RSRC2:USER_SGPR: 6
; COMPUTE_PGM_RSRC2:TRAP_HANDLER: 0
; COMPUTE_PGM_RSRC2:TGID_X_EN: 1
; COMPUTE_PGM_RSRC2:TGID_Y_EN: 1
; COMPUTE_PGM_RSRC2:TGID_Z_EN: 1
; COMPUTE_PGM_RSRC2:TIDIG_COMP_CNT: 0
	.section	.text._ZN7rocprim17ROCPRIM_304000_NS6detail33device_block_merge_oddeven_kernelINS1_37wrapped_merge_sort_block_merge_configINS0_14default_configEjN2at4cuda3cub6detail10OpaqueTypeILi8EEEEEPjSC_PSA_SD_jNS1_19radix_merge_compareILb1ELb1EjNS0_19identity_decomposerEEEEEvT0_T1_T2_T3_T4_SL_T5_,"axG",@progbits,_ZN7rocprim17ROCPRIM_304000_NS6detail33device_block_merge_oddeven_kernelINS1_37wrapped_merge_sort_block_merge_configINS0_14default_configEjN2at4cuda3cub6detail10OpaqueTypeILi8EEEEEPjSC_PSA_SD_jNS1_19radix_merge_compareILb1ELb1EjNS0_19identity_decomposerEEEEEvT0_T1_T2_T3_T4_SL_T5_,comdat
	.protected	_ZN7rocprim17ROCPRIM_304000_NS6detail33device_block_merge_oddeven_kernelINS1_37wrapped_merge_sort_block_merge_configINS0_14default_configEjN2at4cuda3cub6detail10OpaqueTypeILi8EEEEEPjSC_PSA_SD_jNS1_19radix_merge_compareILb1ELb1EjNS0_19identity_decomposerEEEEEvT0_T1_T2_T3_T4_SL_T5_ ; -- Begin function _ZN7rocprim17ROCPRIM_304000_NS6detail33device_block_merge_oddeven_kernelINS1_37wrapped_merge_sort_block_merge_configINS0_14default_configEjN2at4cuda3cub6detail10OpaqueTypeILi8EEEEEPjSC_PSA_SD_jNS1_19radix_merge_compareILb1ELb1EjNS0_19identity_decomposerEEEEEvT0_T1_T2_T3_T4_SL_T5_
	.globl	_ZN7rocprim17ROCPRIM_304000_NS6detail33device_block_merge_oddeven_kernelINS1_37wrapped_merge_sort_block_merge_configINS0_14default_configEjN2at4cuda3cub6detail10OpaqueTypeILi8EEEEEPjSC_PSA_SD_jNS1_19radix_merge_compareILb1ELb1EjNS0_19identity_decomposerEEEEEvT0_T1_T2_T3_T4_SL_T5_
	.p2align	8
	.type	_ZN7rocprim17ROCPRIM_304000_NS6detail33device_block_merge_oddeven_kernelINS1_37wrapped_merge_sort_block_merge_configINS0_14default_configEjN2at4cuda3cub6detail10OpaqueTypeILi8EEEEEPjSC_PSA_SD_jNS1_19radix_merge_compareILb1ELb1EjNS0_19identity_decomposerEEEEEvT0_T1_T2_T3_T4_SL_T5_,@function
_ZN7rocprim17ROCPRIM_304000_NS6detail33device_block_merge_oddeven_kernelINS1_37wrapped_merge_sort_block_merge_configINS0_14default_configEjN2at4cuda3cub6detail10OpaqueTypeILi8EEEEEPjSC_PSA_SD_jNS1_19radix_merge_compareILb1ELb1EjNS0_19identity_decomposerEEEEEvT0_T1_T2_T3_T4_SL_T5_: ; @_ZN7rocprim17ROCPRIM_304000_NS6detail33device_block_merge_oddeven_kernelINS1_37wrapped_merge_sort_block_merge_configINS0_14default_configEjN2at4cuda3cub6detail10OpaqueTypeILi8EEEEEPjSC_PSA_SD_jNS1_19radix_merge_compareILb1ELb1EjNS0_19identity_decomposerEEEEEvT0_T1_T2_T3_T4_SL_T5_
; %bb.0:
	s_load_dwordx4 s[16:19], s[4:5], 0x20
	s_waitcnt lgkmcnt(0)
	s_lshr_b32 s0, s16, 7
	s_cmp_eq_u32 s6, s0
	s_cselect_b64 s[20:21], -1, 0
	s_cmp_lg_u32 s6, s0
	s_cselect_b64 s[0:1], -1, 0
	s_lshl_b32 s22, s6, 7
	s_sub_i32 s2, s16, s22
	v_cmp_gt_u32_e64 s[2:3], s2, v0
	s_or_b64 s[0:1], s[0:1], s[2:3]
	s_and_saveexec_b64 s[8:9], s[0:1]
	s_cbranch_execz .LBB9_24
; %bb.1:
	s_load_dwordx8 s[8:15], s[4:5], 0x0
	s_mov_b32 s23, 0
	s_lshl_b64 s[0:1], s[22:23], 2
	v_lshlrev_b32_e32 v4, 3, v0
	v_lshlrev_b32_e32 v3, 2, v0
	s_waitcnt lgkmcnt(0)
	s_add_u32 s0, s8, s0
	s_addc_u32 s1, s9, s1
	s_lshl_b64 s[4:5], s[22:23], 3
	s_add_u32 s4, s12, s4
	s_addc_u32 s5, s13, s5
	global_load_dwordx2 v[1:2], v4, s[4:5]
	global_load_dword v5, v3, s[0:1]
	s_lshr_b32 s0, s17, 7
	s_sub_i32 s1, 0, s0
	s_and_b32 s1, s6, s1
	s_and_b32 s0, s1, s0
	s_lshl_b32 s13, s1, 7
	s_sub_i32 s6, 0, s17
	s_cmp_eq_u32 s0, 0
	s_cselect_b64 s[0:1], -1, 0
	s_and_b64 s[4:5], s[0:1], exec
	s_cselect_b32 s6, s17, s6
	s_add_i32 s6, s6, s13
	s_mov_b64 s[4:5], -1
	s_cmp_gt_u32 s16, s6
	v_add_u32_e32 v3, s22, v0
	s_cbranch_scc1 .LBB9_9
; %bb.2:
	s_and_b64 vcc, exec, s[20:21]
	s_cbranch_vccz .LBB9_6
; %bb.3:
	v_cmp_gt_u32_e32 vcc, s16, v3
	s_and_saveexec_b64 s[4:5], vcc
	s_cbranch_execz .LBB9_5
; %bb.4:
	v_mov_b32_e32 v4, 0
	v_lshlrev_b64 v[6:7], 3, v[3:4]
	v_mov_b32_e32 v0, s15
	v_add_co_u32_e32 v6, vcc, s14, v6
	v_lshlrev_b64 v[8:9], 2, v[3:4]
	v_addc_co_u32_e32 v7, vcc, v0, v7, vcc
	v_mov_b32_e32 v0, s11
	v_add_co_u32_e32 v8, vcc, s10, v8
	v_addc_co_u32_e32 v9, vcc, v0, v9, vcc
	s_waitcnt vmcnt(0)
	global_store_dword v[8:9], v5, off
	global_store_dwordx2 v[6:7], v[1:2], off
.LBB9_5:
	s_or_b64 exec, exec, s[4:5]
	s_mov_b64 s[4:5], 0
.LBB9_6:
	s_andn2_b64 vcc, exec, s[4:5]
	s_cbranch_vccnz .LBB9_8
; %bb.7:
	v_mov_b32_e32 v4, 0
	v_lshlrev_b64 v[6:7], 2, v[3:4]
	v_mov_b32_e32 v0, s11
	v_add_co_u32_e32 v6, vcc, s10, v6
	v_lshlrev_b64 v[8:9], 3, v[3:4]
	v_addc_co_u32_e32 v7, vcc, v0, v7, vcc
	v_mov_b32_e32 v0, s15
	v_add_co_u32_e32 v8, vcc, s14, v8
	v_addc_co_u32_e32 v9, vcc, v0, v9, vcc
	s_waitcnt vmcnt(0)
	global_store_dword v[6:7], v5, off
	global_store_dwordx2 v[8:9], v[1:2], off
.LBB9_8:
	s_mov_b64 s[4:5], 0
.LBB9_9:
	s_andn2_b64 vcc, exec, s[4:5]
	s_cbranch_vccnz .LBB9_24
; %bb.10:
	s_min_u32 s7, s6, s16
	s_add_i32 s4, s7, s17
	s_min_u32 s12, s4, s16
	s_min_u32 s4, s13, s7
	s_add_i32 s13, s13, s7
	v_subrev_u32_e32 v0, s13, v3
	v_add_u32_e32 v0, s4, v0
	s_waitcnt vmcnt(0)
	v_and_b32_e32 v6, s18, v5
	s_mov_b64 s[4:5], -1
	s_and_b64 vcc, exec, s[20:21]
	s_cbranch_vccz .LBB9_18
; %bb.11:
	s_and_saveexec_b64 s[4:5], s[2:3]
	s_cbranch_execz .LBB9_17
; %bb.12:
	s_cmp_ge_u32 s6, s12
	v_mov_b32_e32 v7, s7
	s_cbranch_scc1 .LBB9_16
; %bb.13:
	s_mov_b64 s[2:3], 0
	v_mov_b32_e32 v8, s12
	v_mov_b32_e32 v7, s7
	;; [unrolled: 1-line block ×4, first 2 shown]
.LBB9_14:                               ; =>This Inner Loop Header: Depth=1
	v_add_u32_e32 v3, v7, v8
	v_lshrrev_b32_e32 v3, 1, v3
	v_lshlrev_b64 v[10:11], 2, v[3:4]
	v_add_co_u32_e32 v10, vcc, s8, v10
	v_addc_co_u32_e32 v11, vcc, v9, v11, vcc
	global_load_dword v10, v[10:11], off
	v_add_u32_e32 v11, 1, v3
	s_waitcnt vmcnt(0)
	v_and_b32_e32 v10, s18, v10
	v_cmp_gt_u32_e32 vcc, v10, v6
	v_cndmask_b32_e64 v12, 0, 1, vcc
	v_cmp_le_u32_e32 vcc, v6, v10
	v_cndmask_b32_e64 v10, 0, 1, vcc
	v_cndmask_b32_e64 v10, v10, v12, s[0:1]
	v_and_b32_e32 v10, 1, v10
	v_cmp_eq_u32_e32 vcc, 1, v10
	v_cndmask_b32_e32 v8, v3, v8, vcc
	v_cndmask_b32_e32 v7, v7, v11, vcc
	v_cmp_ge_u32_e32 vcc, v7, v8
	s_or_b64 s[2:3], vcc, s[2:3]
	s_andn2_b64 exec, exec, s[2:3]
	s_cbranch_execnz .LBB9_14
; %bb.15:
	s_or_b64 exec, exec, s[2:3]
.LBB9_16:
	v_add_u32_e32 v3, v7, v0
	v_mov_b32_e32 v4, 0
	v_lshlrev_b64 v[7:8], 2, v[3:4]
	v_mov_b32_e32 v9, s11
	v_add_co_u32_e32 v7, vcc, s10, v7
	v_lshlrev_b64 v[3:4], 3, v[3:4]
	v_addc_co_u32_e32 v8, vcc, v9, v8, vcc
	global_store_dword v[7:8], v5, off
	v_mov_b32_e32 v7, s15
	v_add_co_u32_e32 v3, vcc, s14, v3
	v_addc_co_u32_e32 v4, vcc, v7, v4, vcc
	global_store_dwordx2 v[3:4], v[1:2], off
.LBB9_17:
	s_or_b64 exec, exec, s[4:5]
	s_mov_b64 s[4:5], 0
.LBB9_18:
	s_andn2_b64 vcc, exec, s[4:5]
	s_cbranch_vccnz .LBB9_24
; %bb.19:
	s_cmp_ge_u32 s6, s12
	v_mov_b32_e32 v7, s7
	s_cbranch_scc1 .LBB9_23
; %bb.20:
	s_mov_b64 s[2:3], 0
	v_mov_b32_e32 v8, s12
	v_mov_b32_e32 v7, s7
	;; [unrolled: 1-line block ×4, first 2 shown]
.LBB9_21:                               ; =>This Inner Loop Header: Depth=1
	v_add_u32_e32 v3, v7, v8
	v_lshrrev_b32_e32 v3, 1, v3
	v_lshlrev_b64 v[10:11], 2, v[3:4]
	v_add_co_u32_e32 v10, vcc, s8, v10
	v_addc_co_u32_e32 v11, vcc, v9, v11, vcc
	global_load_dword v10, v[10:11], off
	v_add_u32_e32 v11, 1, v3
	s_waitcnt vmcnt(0)
	v_and_b32_e32 v10, s18, v10
	v_cmp_gt_u32_e32 vcc, v10, v6
	v_cndmask_b32_e64 v12, 0, 1, vcc
	v_cmp_le_u32_e32 vcc, v6, v10
	v_cndmask_b32_e64 v10, 0, 1, vcc
	v_cndmask_b32_e64 v10, v10, v12, s[0:1]
	v_and_b32_e32 v10, 1, v10
	v_cmp_eq_u32_e32 vcc, 1, v10
	v_cndmask_b32_e32 v8, v3, v8, vcc
	v_cndmask_b32_e32 v7, v7, v11, vcc
	v_cmp_ge_u32_e32 vcc, v7, v8
	s_or_b64 s[2:3], vcc, s[2:3]
	s_andn2_b64 exec, exec, s[2:3]
	s_cbranch_execnz .LBB9_21
; %bb.22:
	s_or_b64 exec, exec, s[2:3]
.LBB9_23:
	v_add_u32_e32 v3, v7, v0
	v_mov_b32_e32 v4, 0
	v_lshlrev_b64 v[6:7], 2, v[3:4]
	v_mov_b32_e32 v0, s11
	v_add_co_u32_e32 v6, vcc, s10, v6
	v_lshlrev_b64 v[3:4], 3, v[3:4]
	v_addc_co_u32_e32 v7, vcc, v0, v7, vcc
	v_mov_b32_e32 v0, s15
	v_add_co_u32_e32 v3, vcc, s14, v3
	v_addc_co_u32_e32 v4, vcc, v0, v4, vcc
	global_store_dword v[6:7], v5, off
	global_store_dwordx2 v[3:4], v[1:2], off
.LBB9_24:
	s_endpgm
	.section	.rodata,"a",@progbits
	.p2align	6, 0x0
	.amdhsa_kernel _ZN7rocprim17ROCPRIM_304000_NS6detail33device_block_merge_oddeven_kernelINS1_37wrapped_merge_sort_block_merge_configINS0_14default_configEjN2at4cuda3cub6detail10OpaqueTypeILi8EEEEEPjSC_PSA_SD_jNS1_19radix_merge_compareILb1ELb1EjNS0_19identity_decomposerEEEEEvT0_T1_T2_T3_T4_SL_T5_
		.amdhsa_group_segment_fixed_size 0
		.amdhsa_private_segment_fixed_size 0
		.amdhsa_kernarg_size 44
		.amdhsa_user_sgpr_count 6
		.amdhsa_user_sgpr_private_segment_buffer 1
		.amdhsa_user_sgpr_dispatch_ptr 0
		.amdhsa_user_sgpr_queue_ptr 0
		.amdhsa_user_sgpr_kernarg_segment_ptr 1
		.amdhsa_user_sgpr_dispatch_id 0
		.amdhsa_user_sgpr_flat_scratch_init 0
		.amdhsa_user_sgpr_private_segment_size 0
		.amdhsa_uses_dynamic_stack 0
		.amdhsa_system_sgpr_private_segment_wavefront_offset 0
		.amdhsa_system_sgpr_workgroup_id_x 1
		.amdhsa_system_sgpr_workgroup_id_y 0
		.amdhsa_system_sgpr_workgroup_id_z 0
		.amdhsa_system_sgpr_workgroup_info 0
		.amdhsa_system_vgpr_workitem_id 0
		.amdhsa_next_free_vgpr 13
		.amdhsa_next_free_sgpr 24
		.amdhsa_reserve_vcc 1
		.amdhsa_reserve_flat_scratch 0
		.amdhsa_float_round_mode_32 0
		.amdhsa_float_round_mode_16_64 0
		.amdhsa_float_denorm_mode_32 3
		.amdhsa_float_denorm_mode_16_64 3
		.amdhsa_dx10_clamp 1
		.amdhsa_ieee_mode 1
		.amdhsa_fp16_overflow 0
		.amdhsa_exception_fp_ieee_invalid_op 0
		.amdhsa_exception_fp_denorm_src 0
		.amdhsa_exception_fp_ieee_div_zero 0
		.amdhsa_exception_fp_ieee_overflow 0
		.amdhsa_exception_fp_ieee_underflow 0
		.amdhsa_exception_fp_ieee_inexact 0
		.amdhsa_exception_int_div_zero 0
	.end_amdhsa_kernel
	.section	.text._ZN7rocprim17ROCPRIM_304000_NS6detail33device_block_merge_oddeven_kernelINS1_37wrapped_merge_sort_block_merge_configINS0_14default_configEjN2at4cuda3cub6detail10OpaqueTypeILi8EEEEEPjSC_PSA_SD_jNS1_19radix_merge_compareILb1ELb1EjNS0_19identity_decomposerEEEEEvT0_T1_T2_T3_T4_SL_T5_,"axG",@progbits,_ZN7rocprim17ROCPRIM_304000_NS6detail33device_block_merge_oddeven_kernelINS1_37wrapped_merge_sort_block_merge_configINS0_14default_configEjN2at4cuda3cub6detail10OpaqueTypeILi8EEEEEPjSC_PSA_SD_jNS1_19radix_merge_compareILb1ELb1EjNS0_19identity_decomposerEEEEEvT0_T1_T2_T3_T4_SL_T5_,comdat
.Lfunc_end9:
	.size	_ZN7rocprim17ROCPRIM_304000_NS6detail33device_block_merge_oddeven_kernelINS1_37wrapped_merge_sort_block_merge_configINS0_14default_configEjN2at4cuda3cub6detail10OpaqueTypeILi8EEEEEPjSC_PSA_SD_jNS1_19radix_merge_compareILb1ELb1EjNS0_19identity_decomposerEEEEEvT0_T1_T2_T3_T4_SL_T5_, .Lfunc_end9-_ZN7rocprim17ROCPRIM_304000_NS6detail33device_block_merge_oddeven_kernelINS1_37wrapped_merge_sort_block_merge_configINS0_14default_configEjN2at4cuda3cub6detail10OpaqueTypeILi8EEEEEPjSC_PSA_SD_jNS1_19radix_merge_compareILb1ELb1EjNS0_19identity_decomposerEEEEEvT0_T1_T2_T3_T4_SL_T5_
                                        ; -- End function
	.set _ZN7rocprim17ROCPRIM_304000_NS6detail33device_block_merge_oddeven_kernelINS1_37wrapped_merge_sort_block_merge_configINS0_14default_configEjN2at4cuda3cub6detail10OpaqueTypeILi8EEEEEPjSC_PSA_SD_jNS1_19radix_merge_compareILb1ELb1EjNS0_19identity_decomposerEEEEEvT0_T1_T2_T3_T4_SL_T5_.num_vgpr, 13
	.set _ZN7rocprim17ROCPRIM_304000_NS6detail33device_block_merge_oddeven_kernelINS1_37wrapped_merge_sort_block_merge_configINS0_14default_configEjN2at4cuda3cub6detail10OpaqueTypeILi8EEEEEPjSC_PSA_SD_jNS1_19radix_merge_compareILb1ELb1EjNS0_19identity_decomposerEEEEEvT0_T1_T2_T3_T4_SL_T5_.num_agpr, 0
	.set _ZN7rocprim17ROCPRIM_304000_NS6detail33device_block_merge_oddeven_kernelINS1_37wrapped_merge_sort_block_merge_configINS0_14default_configEjN2at4cuda3cub6detail10OpaqueTypeILi8EEEEEPjSC_PSA_SD_jNS1_19radix_merge_compareILb1ELb1EjNS0_19identity_decomposerEEEEEvT0_T1_T2_T3_T4_SL_T5_.numbered_sgpr, 24
	.set _ZN7rocprim17ROCPRIM_304000_NS6detail33device_block_merge_oddeven_kernelINS1_37wrapped_merge_sort_block_merge_configINS0_14default_configEjN2at4cuda3cub6detail10OpaqueTypeILi8EEEEEPjSC_PSA_SD_jNS1_19radix_merge_compareILb1ELb1EjNS0_19identity_decomposerEEEEEvT0_T1_T2_T3_T4_SL_T5_.num_named_barrier, 0
	.set _ZN7rocprim17ROCPRIM_304000_NS6detail33device_block_merge_oddeven_kernelINS1_37wrapped_merge_sort_block_merge_configINS0_14default_configEjN2at4cuda3cub6detail10OpaqueTypeILi8EEEEEPjSC_PSA_SD_jNS1_19radix_merge_compareILb1ELb1EjNS0_19identity_decomposerEEEEEvT0_T1_T2_T3_T4_SL_T5_.private_seg_size, 0
	.set _ZN7rocprim17ROCPRIM_304000_NS6detail33device_block_merge_oddeven_kernelINS1_37wrapped_merge_sort_block_merge_configINS0_14default_configEjN2at4cuda3cub6detail10OpaqueTypeILi8EEEEEPjSC_PSA_SD_jNS1_19radix_merge_compareILb1ELb1EjNS0_19identity_decomposerEEEEEvT0_T1_T2_T3_T4_SL_T5_.uses_vcc, 1
	.set _ZN7rocprim17ROCPRIM_304000_NS6detail33device_block_merge_oddeven_kernelINS1_37wrapped_merge_sort_block_merge_configINS0_14default_configEjN2at4cuda3cub6detail10OpaqueTypeILi8EEEEEPjSC_PSA_SD_jNS1_19radix_merge_compareILb1ELb1EjNS0_19identity_decomposerEEEEEvT0_T1_T2_T3_T4_SL_T5_.uses_flat_scratch, 0
	.set _ZN7rocprim17ROCPRIM_304000_NS6detail33device_block_merge_oddeven_kernelINS1_37wrapped_merge_sort_block_merge_configINS0_14default_configEjN2at4cuda3cub6detail10OpaqueTypeILi8EEEEEPjSC_PSA_SD_jNS1_19radix_merge_compareILb1ELb1EjNS0_19identity_decomposerEEEEEvT0_T1_T2_T3_T4_SL_T5_.has_dyn_sized_stack, 0
	.set _ZN7rocprim17ROCPRIM_304000_NS6detail33device_block_merge_oddeven_kernelINS1_37wrapped_merge_sort_block_merge_configINS0_14default_configEjN2at4cuda3cub6detail10OpaqueTypeILi8EEEEEPjSC_PSA_SD_jNS1_19radix_merge_compareILb1ELb1EjNS0_19identity_decomposerEEEEEvT0_T1_T2_T3_T4_SL_T5_.has_recursion, 0
	.set _ZN7rocprim17ROCPRIM_304000_NS6detail33device_block_merge_oddeven_kernelINS1_37wrapped_merge_sort_block_merge_configINS0_14default_configEjN2at4cuda3cub6detail10OpaqueTypeILi8EEEEEPjSC_PSA_SD_jNS1_19radix_merge_compareILb1ELb1EjNS0_19identity_decomposerEEEEEvT0_T1_T2_T3_T4_SL_T5_.has_indirect_call, 0
	.section	.AMDGPU.csdata,"",@progbits
; Kernel info:
; codeLenInByte = 852
; TotalNumSgprs: 28
; NumVgprs: 13
; ScratchSize: 0
; MemoryBound: 0
; FloatMode: 240
; IeeeMode: 1
; LDSByteSize: 0 bytes/workgroup (compile time only)
; SGPRBlocks: 3
; VGPRBlocks: 3
; NumSGPRsForWavesPerEU: 28
; NumVGPRsForWavesPerEU: 13
; Occupancy: 10
; WaveLimiterHint : 0
; COMPUTE_PGM_RSRC2:SCRATCH_EN: 0
; COMPUTE_PGM_RSRC2:USER_SGPR: 6
; COMPUTE_PGM_RSRC2:TRAP_HANDLER: 0
; COMPUTE_PGM_RSRC2:TGID_X_EN: 1
; COMPUTE_PGM_RSRC2:TGID_Y_EN: 0
; COMPUTE_PGM_RSRC2:TGID_Z_EN: 0
; COMPUTE_PGM_RSRC2:TIDIG_COMP_CNT: 0
	.section	.text._ZN7rocprim17ROCPRIM_304000_NS6detail26onesweep_histograms_kernelINS1_34wrapped_radix_sort_onesweep_configINS0_14default_configEjN2at4cuda3cub6detail10OpaqueTypeILi8EEEEELb1EPKjmNS0_19identity_decomposerEEEvT1_PT2_SG_SG_T3_jj,"axG",@progbits,_ZN7rocprim17ROCPRIM_304000_NS6detail26onesweep_histograms_kernelINS1_34wrapped_radix_sort_onesweep_configINS0_14default_configEjN2at4cuda3cub6detail10OpaqueTypeILi8EEEEELb1EPKjmNS0_19identity_decomposerEEEvT1_PT2_SG_SG_T3_jj,comdat
	.protected	_ZN7rocprim17ROCPRIM_304000_NS6detail26onesweep_histograms_kernelINS1_34wrapped_radix_sort_onesweep_configINS0_14default_configEjN2at4cuda3cub6detail10OpaqueTypeILi8EEEEELb1EPKjmNS0_19identity_decomposerEEEvT1_PT2_SG_SG_T3_jj ; -- Begin function _ZN7rocprim17ROCPRIM_304000_NS6detail26onesweep_histograms_kernelINS1_34wrapped_radix_sort_onesweep_configINS0_14default_configEjN2at4cuda3cub6detail10OpaqueTypeILi8EEEEELb1EPKjmNS0_19identity_decomposerEEEvT1_PT2_SG_SG_T3_jj
	.globl	_ZN7rocprim17ROCPRIM_304000_NS6detail26onesweep_histograms_kernelINS1_34wrapped_radix_sort_onesweep_configINS0_14default_configEjN2at4cuda3cub6detail10OpaqueTypeILi8EEEEELb1EPKjmNS0_19identity_decomposerEEEvT1_PT2_SG_SG_T3_jj
	.p2align	8
	.type	_ZN7rocprim17ROCPRIM_304000_NS6detail26onesweep_histograms_kernelINS1_34wrapped_radix_sort_onesweep_configINS0_14default_configEjN2at4cuda3cub6detail10OpaqueTypeILi8EEEEELb1EPKjmNS0_19identity_decomposerEEEvT1_PT2_SG_SG_T3_jj,@function
_ZN7rocprim17ROCPRIM_304000_NS6detail26onesweep_histograms_kernelINS1_34wrapped_radix_sort_onesweep_configINS0_14default_configEjN2at4cuda3cub6detail10OpaqueTypeILi8EEEEELb1EPKjmNS0_19identity_decomposerEEEvT1_PT2_SG_SG_T3_jj: ; @_ZN7rocprim17ROCPRIM_304000_NS6detail26onesweep_histograms_kernelINS1_34wrapped_radix_sort_onesweep_configINS0_14default_configEjN2at4cuda3cub6detail10OpaqueTypeILi8EEEEELb1EPKjmNS0_19identity_decomposerEEEvT1_PT2_SG_SG_T3_jj
; %bb.0:
	s_load_dwordx8 s[24:31], s[4:5], 0x0
	s_load_dwordx2 s[34:35], s[4:5], 0x24
	v_mov_b32_e32 v1, s6
	v_mov_b32_e32 v2, 0
	s_mul_hi_u32 s0, s6, 0x3000
	s_waitcnt lgkmcnt(0)
	v_cmp_le_u64_e32 vcc, s[30:31], v[1:2]
	s_mulk_i32 s6, 0x3000
	s_add_u32 s24, s24, s6
	s_addc_u32 s25, s25, s0
	s_mov_b64 s[0:1], -1
	v_lshlrev_b32_e32 v3, 2, v0
	s_cbranch_vccz .LBB10_82
; %bb.1:
	s_mul_i32 s0, s30, 0xfffff400
	v_lshlrev_b32_e32 v16, 2, v0
	s_add_i32 s28, s0, s28
	v_mov_b32_e32 v2, s25
	v_add_co_u32_e32 v1, vcc, s24, v16
	v_addc_co_u32_e32 v2, vcc, 0, v2, vcc
	v_cmp_gt_u32_e64 s[22:23], s28, v0
                                        ; implicit-def: $vgpr15
	s_and_saveexec_b64 s[0:1], s[22:23]
	s_cbranch_execz .LBB10_3
; %bb.2:
	global_load_dword v4, v[1:2], off
	s_waitcnt vmcnt(0)
	v_not_b32_e32 v15, v4
.LBB10_3:
	s_or_b64 exec, exec, s[0:1]
	v_or_b32_e32 v4, 0x100, v0
	v_cmp_gt_u32_e64 s[20:21], s28, v4
                                        ; implicit-def: $vgpr14
	s_and_saveexec_b64 s[0:1], s[20:21]
	s_cbranch_execz .LBB10_5
; %bb.4:
	global_load_dword v4, v[1:2], off offset:1024
	s_waitcnt vmcnt(0)
	v_not_b32_e32 v14, v4
.LBB10_5:
	s_or_b64 exec, exec, s[0:1]
	v_or_b32_e32 v4, 0x200, v0
	v_cmp_gt_u32_e64 s[18:19], s28, v4
                                        ; implicit-def: $vgpr13
	s_and_saveexec_b64 s[0:1], s[18:19]
	s_cbranch_execz .LBB10_7
; %bb.6:
	global_load_dword v4, v[1:2], off offset:2048
	s_waitcnt vmcnt(0)
	v_not_b32_e32 v13, v4
.LBB10_7:
	s_or_b64 exec, exec, s[0:1]
	v_or_b32_e32 v4, 0x300, v0
	v_cmp_gt_u32_e64 s[16:17], s28, v4
                                        ; implicit-def: $vgpr12
	s_and_saveexec_b64 s[0:1], s[16:17]
	s_cbranch_execz .LBB10_9
; %bb.8:
	global_load_dword v4, v[1:2], off offset:3072
	s_waitcnt vmcnt(0)
	v_not_b32_e32 v12, v4
.LBB10_9:
	s_or_b64 exec, exec, s[0:1]
	v_or_b32_e32 v4, 0x400, v0
	v_cmp_gt_u32_e64 s[14:15], s28, v4
                                        ; implicit-def: $vgpr11
	s_and_saveexec_b64 s[0:1], s[14:15]
	s_cbranch_execz .LBB10_11
; %bb.10:
	v_add_co_u32_e32 v4, vcc, 0x1000, v1
	v_addc_co_u32_e32 v5, vcc, 0, v2, vcc
	global_load_dword v4, v[4:5], off
	s_waitcnt vmcnt(0)
	v_not_b32_e32 v11, v4
.LBB10_11:
	s_or_b64 exec, exec, s[0:1]
	v_or_b32_e32 v4, 0x500, v0
	v_cmp_gt_u32_e64 s[12:13], s28, v4
                                        ; implicit-def: $vgpr10
	s_and_saveexec_b64 s[0:1], s[12:13]
	s_cbranch_execz .LBB10_13
; %bb.12:
	v_add_co_u32_e32 v4, vcc, 0x1000, v1
	v_addc_co_u32_e32 v5, vcc, 0, v2, vcc
	global_load_dword v4, v[4:5], off offset:1024
	s_waitcnt vmcnt(0)
	v_not_b32_e32 v10, v4
.LBB10_13:
	s_or_b64 exec, exec, s[0:1]
	v_or_b32_e32 v4, 0x600, v0
	v_cmp_gt_u32_e64 s[10:11], s28, v4
                                        ; implicit-def: $vgpr9
	s_and_saveexec_b64 s[0:1], s[10:11]
	s_cbranch_execz .LBB10_15
; %bb.14:
	v_add_co_u32_e32 v4, vcc, 0x1000, v1
	v_addc_co_u32_e32 v5, vcc, 0, v2, vcc
	global_load_dword v4, v[4:5], off offset:2048
	s_waitcnt vmcnt(0)
	v_not_b32_e32 v9, v4
.LBB10_15:
	s_or_b64 exec, exec, s[0:1]
	v_or_b32_e32 v4, 0x700, v0
	v_cmp_gt_u32_e64 s[8:9], s28, v4
                                        ; implicit-def: $vgpr8
	s_and_saveexec_b64 s[0:1], s[8:9]
	s_cbranch_execz .LBB10_17
; %bb.16:
	v_add_co_u32_e32 v4, vcc, 0x1000, v1
	v_addc_co_u32_e32 v5, vcc, 0, v2, vcc
	global_load_dword v4, v[4:5], off offset:3072
	s_waitcnt vmcnt(0)
	v_not_b32_e32 v8, v4
.LBB10_17:
	s_or_b64 exec, exec, s[0:1]
	v_or_b32_e32 v4, 0x800, v0
	v_cmp_gt_u32_e64 s[6:7], s28, v4
                                        ; implicit-def: $vgpr7
	s_and_saveexec_b64 s[0:1], s[6:7]
	s_cbranch_execz .LBB10_19
; %bb.18:
	v_add_co_u32_e32 v4, vcc, 0x2000, v1
	v_addc_co_u32_e32 v5, vcc, 0, v2, vcc
	global_load_dword v4, v[4:5], off
	s_waitcnt vmcnt(0)
	v_not_b32_e32 v7, v4
.LBB10_19:
	s_or_b64 exec, exec, s[0:1]
	v_or_b32_e32 v4, 0x900, v0
	v_cmp_gt_u32_e64 s[4:5], s28, v4
                                        ; implicit-def: $vgpr6
	s_and_saveexec_b64 s[0:1], s[4:5]
	s_cbranch_execz .LBB10_21
; %bb.20:
	v_add_co_u32_e32 v4, vcc, 0x2000, v1
	v_addc_co_u32_e32 v5, vcc, 0, v2, vcc
	global_load_dword v4, v[4:5], off offset:1024
	s_waitcnt vmcnt(0)
	v_not_b32_e32 v6, v4
.LBB10_21:
	s_or_b64 exec, exec, s[0:1]
	v_or_b32_e32 v4, 0xa00, v0
	v_cmp_gt_u32_e64 s[2:3], s28, v4
                                        ; implicit-def: $vgpr5
	s_and_saveexec_b64 s[0:1], s[2:3]
	s_cbranch_execz .LBB10_23
; %bb.22:
	v_add_co_u32_e32 v4, vcc, 0x2000, v1
	v_addc_co_u32_e32 v5, vcc, 0, v2, vcc
	global_load_dword v4, v[4:5], off offset:2048
	s_waitcnt vmcnt(0)
	v_not_b32_e32 v5, v4
.LBB10_23:
	s_or_b64 exec, exec, s[0:1]
	v_or_b32_e32 v4, 0xb00, v0
	v_cmp_gt_u32_e64 s[0:1], s28, v4
                                        ; implicit-def: $vgpr4
	s_and_saveexec_b64 s[28:29], s[0:1]
	s_cbranch_execz .LBB10_25
; %bb.24:
	v_add_co_u32_e32 v1, vcc, 0x2000, v1
	v_addc_co_u32_e32 v2, vcc, 0, v2, vcc
	global_load_dword v1, v[1:2], off offset:3072
	s_waitcnt vmcnt(0)
	v_not_b32_e32 v4, v1
.LBB10_25:
	s_or_b64 exec, exec, s[28:29]
	v_or_b32_e32 v1, 0xffffff00, v0
	s_mov_b64 s[28:29], 0
	v_mov_b32_e32 v2, 0
	s_movk_i32 s30, 0xeff
.LBB10_26:                              ; =>This Inner Loop Header: Depth=1
	v_add_u32_e32 v1, 0x100, v1
	v_cmp_lt_u32_e32 vcc, s30, v1
	ds_write_b32 v16, v2
	s_or_b64 s[28:29], vcc, s[28:29]
	v_add_u32_e32 v16, 0x400, v16
	s_andn2_b64 exec, exec, s[28:29]
	s_cbranch_execnz .LBB10_26
; %bb.27:
	s_or_b64 exec, exec, s[28:29]
	s_cmp_gt_u32 s35, s34
	s_cselect_b64 s[28:29], -1, 0
	s_cmp_le_u32 s35, s34
	s_waitcnt lgkmcnt(0)
	s_barrier
	s_cbranch_scc1 .LBB10_76
; %bb.28:
	v_and_b32_e32 v1, 3, v0
	v_lshlrev_b32_e32 v1, 2, v1
	s_sub_i32 s33, s35, s34
	v_mov_b32_e32 v2, 1
	s_mov_b32 s36, s33
	v_mov_b32_e32 v16, v1
	s_mov_b32 s37, s34
	s_branch .LBB10_30
.LBB10_29:                              ;   in Loop: Header=BB10_30 Depth=1
	s_or_b64 exec, exec, s[30:31]
	s_add_i32 s37, s37, 8
	s_add_i32 s36, s36, -8
	s_cmp_lt_u32 s37, s35
	v_add_u32_e32 v16, 0x1000, v16
	s_cbranch_scc0 .LBB10_32
.LBB10_30:                              ; =>This Inner Loop Header: Depth=1
	s_and_saveexec_b64 s[30:31], s[22:23]
	s_cbranch_execz .LBB10_29
; %bb.31:                               ;   in Loop: Header=BB10_30 Depth=1
	s_min_u32 s38, s36, 8
	v_lshrrev_b32_e32 v17, s37, v15
	v_bfe_u32 v17, v17, 0, s38
	v_lshl_add_u32 v17, v17, 4, v16
	ds_add_u32 v17, v2
	s_branch .LBB10_29
.LBB10_32:
	v_mov_b32_e32 v2, 1
	s_mov_b32 s30, s33
	v_mov_b32_e32 v15, v1
	s_mov_b32 s31, s34
	s_branch .LBB10_34
.LBB10_33:                              ;   in Loop: Header=BB10_34 Depth=1
	s_or_b64 exec, exec, s[22:23]
	s_add_i32 s31, s31, 8
	s_add_i32 s30, s30, -8
	s_cmp_lt_u32 s31, s35
	v_add_u32_e32 v15, 0x1000, v15
	s_cbranch_scc0 .LBB10_36
.LBB10_34:                              ; =>This Inner Loop Header: Depth=1
	s_and_saveexec_b64 s[22:23], s[20:21]
	s_cbranch_execz .LBB10_33
; %bb.35:                               ;   in Loop: Header=BB10_34 Depth=1
	s_min_u32 s36, s30, 8
	v_lshrrev_b32_e32 v16, s31, v14
	v_bfe_u32 v16, v16, 0, s36
	v_lshl_add_u32 v16, v16, 4, v15
	ds_add_u32 v16, v2
	s_branch .LBB10_33
.LBB10_36:
	;; [unrolled: 23-line block ×11, first 2 shown]
	v_mov_b32_e32 v2, 1
	s_mov_b32 s4, s34
	s_branch .LBB10_74
.LBB10_73:                              ;   in Loop: Header=BB10_74 Depth=1
	s_or_b64 exec, exec, s[2:3]
	s_add_i32 s4, s4, 8
	s_add_i32 s33, s33, -8
	s_cmp_lt_u32 s4, s35
	v_add_u32_e32 v1, 0x1000, v1
	s_cbranch_scc0 .LBB10_76
.LBB10_74:                              ; =>This Inner Loop Header: Depth=1
	s_and_saveexec_b64 s[2:3], s[0:1]
	s_cbranch_execz .LBB10_73
; %bb.75:                               ;   in Loop: Header=BB10_74 Depth=1
	s_min_u32 s5, s33, 8
	v_lshrrev_b32_e32 v5, s4, v4
	v_bfe_u32 v5, v5, 0, s5
	v_lshl_add_u32 v5, v5, 4, v1
	ds_add_u32 v5, v2
	s_branch .LBB10_73
.LBB10_76:
	s_and_b64 vcc, exec, s[28:29]
	s_waitcnt lgkmcnt(0)
	s_barrier
	s_cbranch_vccz .LBB10_81
; %bb.77:
	s_movk_i32 s0, 0x100
	v_cmp_gt_u32_e32 vcc, s0, v0
	v_lshlrev_b32_e32 v4, 4, v0
	v_mov_b32_e32 v2, 0
	v_mov_b32_e32 v1, v0
	s_mov_b32 s4, s34
	s_branch .LBB10_79
.LBB10_78:                              ;   in Loop: Header=BB10_79 Depth=1
	s_or_b64 exec, exec, s[2:3]
	s_add_i32 s4, s4, 8
	v_add_u32_e32 v1, 0x100, v1
	s_cmp_lt_u32 s4, s35
	v_add_u32_e32 v4, 0x1000, v4
	s_cbranch_scc0 .LBB10_81
.LBB10_79:                              ; =>This Inner Loop Header: Depth=1
	s_and_saveexec_b64 s[2:3], vcc
	s_cbranch_execz .LBB10_78
; %bb.80:                               ;   in Loop: Header=BB10_79 Depth=1
	ds_read2_b32 v[5:6], v4 offset1:1
	ds_read2_b32 v[7:8], v4 offset0:2 offset1:3
	v_lshlrev_b64 v[9:10], 3, v[1:2]
	v_mov_b32_e32 v11, s27
	s_waitcnt lgkmcnt(1)
	v_add_u32_e32 v5, v6, v5
	s_waitcnt lgkmcnt(0)
	v_add3_u32 v5, v5, v7, v8
	v_add_co_u32_e64 v7, s[0:1], s26, v9
	v_addc_co_u32_e64 v8, s[0:1], v11, v10, s[0:1]
	v_mov_b32_e32 v6, v2
	global_atomic_add_x2 v[7:8], v[5:6], off
	s_branch .LBB10_78
.LBB10_81:
	s_mov_b64 s[0:1], 0
.LBB10_82:
	s_and_b64 vcc, exec, s[0:1]
	s_cbranch_vccz .LBB10_122
; %bb.83:
	v_mov_b32_e32 v1, s25
	v_add_co_u32_e32 v8, vcc, s24, v3
	v_addc_co_u32_e32 v9, vcc, 0, v1, vcc
	v_add_co_u32_e32 v1, vcc, 0x1000, v8
	v_addc_co_u32_e32 v2, vcc, 0, v9, vcc
	v_add_co_u32_e32 v16, vcc, 0x2000, v8
	global_load_dword v4, v3, s[24:25]
	global_load_dword v5, v3, s[24:25] offset:1024
	global_load_dword v6, v3, s[24:25] offset:2048
	;; [unrolled: 1-line block ×3, first 2 shown]
	v_addc_co_u32_e32 v17, vcc, 0, v9, vcc
	global_load_dword v8, v[1:2], off
	global_load_dword v9, v[1:2], off offset:1024
	global_load_dword v10, v[1:2], off offset:2048
	;; [unrolled: 1-line block ×3, first 2 shown]
	global_load_dword v12, v[16:17], off
	global_load_dword v13, v[16:17], off offset:1024
	global_load_dword v14, v[16:17], off offset:2048
	;; [unrolled: 1-line block ×3, first 2 shown]
	s_cmp_eq_u32 s34, 0
	s_cselect_b64 s[0:1], -1, 0
	s_cmp_eq_u32 s35, 32
	s_cselect_b64 s[2:3], -1, 0
	s_and_b64 s[2:3], s[0:1], s[2:3]
	v_mov_b32_e32 v1, 0
	s_mov_b64 s[0:1], -1
	s_and_b64 vcc, exec, s[2:3]
	s_cbranch_vccnz .LBB10_117
; %bb.84:
	v_or_b32_e32 v2, 0xffffff00, v0
	s_mov_b64 s[0:1], 0
	s_movk_i32 s2, 0xeff
.LBB10_85:                              ; =>This Inner Loop Header: Depth=1
	v_add_u32_e32 v2, 0x100, v2
	v_cmp_lt_u32_e32 vcc, s2, v2
	ds_write_b32 v3, v1
	s_or_b64 s[0:1], vcc, s[0:1]
	v_add_u32_e32 v3, 0x400, v3
	s_andn2_b64 exec, exec, s[0:1]
	s_cbranch_execnz .LBB10_85
; %bb.86:
	s_or_b64 exec, exec, s[0:1]
	s_cmp_gt_u32 s35, s34
	s_cselect_b64 s[0:1], -1, 0
	s_cmp_le_u32 s35, s34
	s_waitcnt vmcnt(0) lgkmcnt(0)
	s_barrier
	s_cbranch_scc1 .LBB10_111
; %bb.87:
	v_and_b32_e32 v1, 3, v0
	v_lshlrev_b32_e32 v1, 2, v1
	s_sub_i32 s2, s35, s34
	v_not_b32_e32 v2, v4
	v_mov_b32_e32 v3, 1
	s_mov_b32 s3, s2
	v_mov_b32_e32 v16, v1
	s_mov_b32 s4, s34
.LBB10_88:                              ; =>This Inner Loop Header: Depth=1
	s_min_u32 s5, s3, 8
	v_lshrrev_b32_e32 v17, s4, v2
	v_bfe_u32 v17, v17, 0, s5
	v_lshl_add_u32 v17, v17, 4, v16
	ds_add_u32 v17, v3
	s_add_i32 s4, s4, 8
	s_add_i32 s3, s3, -8
	s_cmp_lt_u32 s4, s35
	v_add_u32_e32 v16, 0x1000, v16
	s_cbranch_scc1 .LBB10_88
; %bb.89:
	v_not_b32_e32 v2, v5
	v_mov_b32_e32 v3, 1
	s_mov_b32 s3, s2
	v_mov_b32_e32 v16, v1
	s_mov_b32 s4, s34
.LBB10_90:                              ; =>This Inner Loop Header: Depth=1
	s_min_u32 s5, s3, 8
	v_lshrrev_b32_e32 v17, s4, v2
	v_bfe_u32 v17, v17, 0, s5
	v_lshl_add_u32 v17, v17, 4, v16
	ds_add_u32 v17, v3
	s_add_i32 s4, s4, 8
	s_add_i32 s3, s3, -8
	s_cmp_lt_u32 s4, s35
	v_add_u32_e32 v16, 0x1000, v16
	s_cbranch_scc1 .LBB10_90
; %bb.91:
	;; [unrolled: 17-line block ×6, first 2 shown]
	v_not_b32_e32 v2, v10
	v_mov_b32_e32 v3, 1
	s_mov_b32 s3, s2
	v_mov_b32_e32 v16, v1
	s_mov_b32 s4, s34
.LBB10_100:                             ; =>This Inner Loop Header: Depth=1
	s_min_u32 s5, s3, 8
	v_lshrrev_b32_e32 v17, s4, v2
	v_bfe_u32 v17, v17, 0, s5
	v_lshl_add_u32 v17, v17, 4, v16
	ds_add_u32 v17, v3
	s_add_i32 s4, s4, 8
	s_add_i32 s3, s3, -8
	s_cmp_lt_u32 s4, s35
	v_add_u32_e32 v16, 0x1000, v16
	s_cbranch_scc1 .LBB10_100
; %bb.101:
	v_not_b32_e32 v2, v11
	v_mov_b32_e32 v3, 1
	s_mov_b32 s3, s2
	v_mov_b32_e32 v16, v1
	s_mov_b32 s4, s34
.LBB10_102:                             ; =>This Inner Loop Header: Depth=1
	s_min_u32 s5, s3, 8
	v_lshrrev_b32_e32 v17, s4, v2
	v_bfe_u32 v17, v17, 0, s5
	v_lshl_add_u32 v17, v17, 4, v16
	ds_add_u32 v17, v3
	s_add_i32 s4, s4, 8
	s_add_i32 s3, s3, -8
	s_cmp_lt_u32 s4, s35
	v_add_u32_e32 v16, 0x1000, v16
	s_cbranch_scc1 .LBB10_102
; %bb.103:
	;; [unrolled: 17-line block ×5, first 2 shown]
	v_not_b32_e32 v2, v15
	v_mov_b32_e32 v3, 1
	s_mov_b32 s3, s34
.LBB10_110:                             ; =>This Inner Loop Header: Depth=1
	s_min_u32 s4, s2, 8
	v_lshrrev_b32_e32 v16, s3, v2
	v_bfe_u32 v16, v16, 0, s4
	v_lshl_add_u32 v16, v16, 4, v1
	ds_add_u32 v16, v3
	s_add_i32 s3, s3, 8
	s_add_i32 s2, s2, -8
	s_cmp_lt_u32 s3, s35
	v_add_u32_e32 v1, 0x1000, v1
	s_cbranch_scc1 .LBB10_110
.LBB10_111:
	s_and_b64 vcc, exec, s[0:1]
	s_waitcnt lgkmcnt(0)
	s_barrier
	s_cbranch_vccz .LBB10_116
; %bb.112:
	s_movk_i32 s0, 0x100
	v_cmp_gt_u32_e32 vcc, s0, v0
	v_lshlrev_b32_e32 v3, 4, v0
	v_mov_b32_e32 v2, 0
	v_mov_b32_e32 v1, v0
	s_branch .LBB10_114
.LBB10_113:                             ;   in Loop: Header=BB10_114 Depth=1
	s_or_b64 exec, exec, s[2:3]
	s_add_i32 s34, s34, 8
	v_add_u32_e32 v1, 0x100, v1
	s_cmp_ge_u32 s34, s35
	v_add_u32_e32 v3, 0x1000, v3
	s_cbranch_scc1 .LBB10_116
.LBB10_114:                             ; =>This Inner Loop Header: Depth=1
	s_and_saveexec_b64 s[2:3], vcc
	s_cbranch_execz .LBB10_113
; %bb.115:                              ;   in Loop: Header=BB10_114 Depth=1
	ds_read2_b32 v[16:17], v3 offset1:1
	ds_read2_b32 v[18:19], v3 offset0:2 offset1:3
	v_lshlrev_b64 v[20:21], 3, v[1:2]
	v_mov_b32_e32 v22, s27
	s_waitcnt lgkmcnt(1)
	v_add_u32_e32 v16, v17, v16
	s_waitcnt lgkmcnt(0)
	v_add3_u32 v16, v16, v18, v19
	v_add_co_u32_e64 v18, s[0:1], s26, v20
	v_addc_co_u32_e64 v19, s[0:1], v22, v21, s[0:1]
	v_mov_b32_e32 v17, v2
	global_atomic_add_x2 v[18:19], v[16:17], off
	s_branch .LBB10_113
.LBB10_116:
	s_mov_b64 s[0:1], 0
.LBB10_117:
	s_and_b64 vcc, exec, s[0:1]
	s_cbranch_vccz .LBB10_122
; %bb.118:
	v_or_b32_e32 v1, 0xffffff00, v0
	v_lshlrev_b32_e32 v2, 2, v0
	s_mov_b64 s[0:1], 0
	v_mov_b32_e32 v3, 0
	s_movk_i32 s2, 0xeff
.LBB10_119:                             ; =>This Inner Loop Header: Depth=1
	v_add_u32_e32 v1, 0x100, v1
	v_cmp_lt_u32_e32 vcc, s2, v1
	ds_write_b32 v2, v3
	s_or_b64 s[0:1], vcc, s[0:1]
	v_add_u32_e32 v2, 0x400, v2
	s_andn2_b64 exec, exec, s[0:1]
	s_cbranch_execnz .LBB10_119
; %bb.120:
	s_or_b64 exec, exec, s[0:1]
	s_waitcnt vmcnt(11)
	v_not_b32_e32 v1, v4
	s_waitcnt vmcnt(8)
	v_not_b32_e32 v4, v7
	;; [unrolled: 2-line block ×4, first 2 shown]
	v_and_b32_e32 v13, 3, v0
	v_not_b32_e32 v2, v5
	v_not_b32_e32 v5, v8
	;; [unrolled: 1-line block ×3, first 2 shown]
	s_waitcnt vmcnt(1)
	v_not_b32_e32 v11, v14
	v_lshlrev_b32_e32 v14, 4, v1
	v_lshlrev_b32_e32 v13, 2, v13
	s_movk_i32 s0, 0xff0
	v_not_b32_e32 v3, v6
	v_not_b32_e32 v6, v9
	;; [unrolled: 1-line block ×3, first 2 shown]
	s_waitcnt vmcnt(0)
	v_not_b32_e32 v12, v15
	v_and_or_b32 v14, v14, s0, v13
	v_mov_b32_e32 v15, 1
	s_waitcnt lgkmcnt(0)
	s_barrier
	ds_add_u32 v14, v15
	v_bfe_u32 v14, v1, 8, 8
	v_lshl_or_b32 v14, v14, 4, v13
	ds_add_u32 v14, v15 offset:4096
	v_bfe_u32 v14, v1, 16, 8
	v_lshl_or_b32 v14, v14, 4, v13
	v_lshrrev_b32_e32 v1, 24, v1
	ds_add_u32 v14, v15 offset:8192
	v_lshl_or_b32 v1, v1, 4, v13
	ds_add_u32 v1, v15 offset:12288
	v_lshlrev_b32_e32 v1, 4, v2
	v_and_or_b32 v1, v1, s0, v13
	ds_add_u32 v1, v15
	v_bfe_u32 v1, v2, 8, 8
	v_lshl_or_b32 v1, v1, 4, v13
	ds_add_u32 v1, v15 offset:4096
	v_bfe_u32 v1, v2, 16, 8
	v_lshl_or_b32 v1, v1, 4, v13
	ds_add_u32 v1, v15 offset:8192
	v_lshrrev_b32_e32 v1, 24, v2
	v_lshl_or_b32 v1, v1, 4, v13
	ds_add_u32 v1, v15 offset:12288
	v_lshlrev_b32_e32 v1, 4, v3
	v_and_or_b32 v1, v1, s0, v13
	ds_add_u32 v1, v15
	v_bfe_u32 v1, v3, 8, 8
	v_lshl_or_b32 v1, v1, 4, v13
	ds_add_u32 v1, v15 offset:4096
	v_bfe_u32 v1, v3, 16, 8
	v_lshl_or_b32 v1, v1, 4, v13
	ds_add_u32 v1, v15 offset:8192
	v_lshrrev_b32_e32 v1, 24, v3
	;; [unrolled: 12-line block ×11, first 2 shown]
	v_lshl_or_b32 v1, v1, 4, v13
	ds_add_u32 v1, v15 offset:12288
	s_movk_i32 s0, 0x100
	v_cmp_gt_u32_e32 vcc, s0, v0
	s_waitcnt lgkmcnt(0)
	s_barrier
	s_and_saveexec_b64 s[0:1], vcc
	s_cbranch_execz .LBB10_122
; %bb.121:
	v_lshlrev_b32_e32 v6, 4, v0
	ds_read2_b32 v[1:2], v6 offset1:1
	ds_read2_b32 v[3:4], v6 offset0:2 offset1:3
	v_lshlrev_b32_e32 v7, 3, v0
	v_mov_b32_e32 v5, 0
	v_or_b32_e32 v0, 0x1000, v6
	s_waitcnt lgkmcnt(1)
	v_add_u32_e32 v1, v2, v1
	s_waitcnt lgkmcnt(0)
	v_add3_u32 v4, v1, v3, v4
	global_atomic_add_x2 v7, v[4:5], s[26:27]
	v_or_b32_e32 v2, 0x1008, v6
	ds_read2_b32 v[0:1], v0 offset1:1
	ds_read2_b32 v[2:3], v2 offset1:1
	v_or_b32_e32 v9, 0x2000, v6
	v_mov_b32_e32 v8, s27
	s_movk_i32 s0, 0x1000
	s_waitcnt lgkmcnt(1)
	v_add_u32_e32 v0, v1, v0
	s_waitcnt lgkmcnt(0)
	v_add3_u32 v4, v0, v2, v3
	global_atomic_add_x2 v7, v[4:5], s[26:27] offset:2048
	v_or_b32_e32 v2, 0x2008, v6
	ds_read2_b32 v[0:1], v9 offset1:1
	ds_read2_b32 v[2:3], v2 offset1:1
	v_add_co_u32_e32 v7, vcc, s26, v7
	v_addc_co_u32_e32 v8, vcc, 0, v8, vcc
	s_waitcnt lgkmcnt(1)
	v_add_u32_e32 v0, v1, v0
	s_waitcnt lgkmcnt(0)
	v_add3_u32 v4, v0, v2, v3
	v_add_co_u32_e32 v0, vcc, s0, v7
	v_addc_co_u32_e32 v1, vcc, 0, v8, vcc
	global_atomic_add_x2 v[0:1], v[4:5], off
	v_or_b32_e32 v2, 0x3000, v6
	v_or_b32_e32 v4, 0x3008, v6
	ds_read2_b32 v[2:3], v2 offset1:1
	ds_read2_b32 v[6:7], v4 offset1:1
	s_waitcnt lgkmcnt(1)
	v_add_u32_e32 v2, v3, v2
	s_waitcnt lgkmcnt(0)
	v_add3_u32 v4, v2, v6, v7
	global_atomic_add_x2 v[0:1], v[4:5], off offset:2048
.LBB10_122:
	s_endpgm
	.section	.rodata,"a",@progbits
	.p2align	6, 0x0
	.amdhsa_kernel _ZN7rocprim17ROCPRIM_304000_NS6detail26onesweep_histograms_kernelINS1_34wrapped_radix_sort_onesweep_configINS0_14default_configEjN2at4cuda3cub6detail10OpaqueTypeILi8EEEEELb1EPKjmNS0_19identity_decomposerEEEvT1_PT2_SG_SG_T3_jj
		.amdhsa_group_segment_fixed_size 16384
		.amdhsa_private_segment_fixed_size 0
		.amdhsa_kernarg_size 44
		.amdhsa_user_sgpr_count 6
		.amdhsa_user_sgpr_private_segment_buffer 1
		.amdhsa_user_sgpr_dispatch_ptr 0
		.amdhsa_user_sgpr_queue_ptr 0
		.amdhsa_user_sgpr_kernarg_segment_ptr 1
		.amdhsa_user_sgpr_dispatch_id 0
		.amdhsa_user_sgpr_flat_scratch_init 0
		.amdhsa_user_sgpr_private_segment_size 0
		.amdhsa_uses_dynamic_stack 0
		.amdhsa_system_sgpr_private_segment_wavefront_offset 0
		.amdhsa_system_sgpr_workgroup_id_x 1
		.amdhsa_system_sgpr_workgroup_id_y 0
		.amdhsa_system_sgpr_workgroup_id_z 0
		.amdhsa_system_sgpr_workgroup_info 0
		.amdhsa_system_vgpr_workitem_id 0
		.amdhsa_next_free_vgpr 49
		.amdhsa_next_free_sgpr 98
		.amdhsa_reserve_vcc 1
		.amdhsa_reserve_flat_scratch 0
		.amdhsa_float_round_mode_32 0
		.amdhsa_float_round_mode_16_64 0
		.amdhsa_float_denorm_mode_32 3
		.amdhsa_float_denorm_mode_16_64 3
		.amdhsa_dx10_clamp 1
		.amdhsa_ieee_mode 1
		.amdhsa_fp16_overflow 0
		.amdhsa_exception_fp_ieee_invalid_op 0
		.amdhsa_exception_fp_denorm_src 0
		.amdhsa_exception_fp_ieee_div_zero 0
		.amdhsa_exception_fp_ieee_overflow 0
		.amdhsa_exception_fp_ieee_underflow 0
		.amdhsa_exception_fp_ieee_inexact 0
		.amdhsa_exception_int_div_zero 0
	.end_amdhsa_kernel
	.section	.text._ZN7rocprim17ROCPRIM_304000_NS6detail26onesweep_histograms_kernelINS1_34wrapped_radix_sort_onesweep_configINS0_14default_configEjN2at4cuda3cub6detail10OpaqueTypeILi8EEEEELb1EPKjmNS0_19identity_decomposerEEEvT1_PT2_SG_SG_T3_jj,"axG",@progbits,_ZN7rocprim17ROCPRIM_304000_NS6detail26onesweep_histograms_kernelINS1_34wrapped_radix_sort_onesweep_configINS0_14default_configEjN2at4cuda3cub6detail10OpaqueTypeILi8EEEEELb1EPKjmNS0_19identity_decomposerEEEvT1_PT2_SG_SG_T3_jj,comdat
.Lfunc_end10:
	.size	_ZN7rocprim17ROCPRIM_304000_NS6detail26onesweep_histograms_kernelINS1_34wrapped_radix_sort_onesweep_configINS0_14default_configEjN2at4cuda3cub6detail10OpaqueTypeILi8EEEEELb1EPKjmNS0_19identity_decomposerEEEvT1_PT2_SG_SG_T3_jj, .Lfunc_end10-_ZN7rocprim17ROCPRIM_304000_NS6detail26onesweep_histograms_kernelINS1_34wrapped_radix_sort_onesweep_configINS0_14default_configEjN2at4cuda3cub6detail10OpaqueTypeILi8EEEEELb1EPKjmNS0_19identity_decomposerEEEvT1_PT2_SG_SG_T3_jj
                                        ; -- End function
	.set _ZN7rocprim17ROCPRIM_304000_NS6detail26onesweep_histograms_kernelINS1_34wrapped_radix_sort_onesweep_configINS0_14default_configEjN2at4cuda3cub6detail10OpaqueTypeILi8EEEEELb1EPKjmNS0_19identity_decomposerEEEvT1_PT2_SG_SG_T3_jj.num_vgpr, 23
	.set _ZN7rocprim17ROCPRIM_304000_NS6detail26onesweep_histograms_kernelINS1_34wrapped_radix_sort_onesweep_configINS0_14default_configEjN2at4cuda3cub6detail10OpaqueTypeILi8EEEEELb1EPKjmNS0_19identity_decomposerEEEvT1_PT2_SG_SG_T3_jj.num_agpr, 0
	.set _ZN7rocprim17ROCPRIM_304000_NS6detail26onesweep_histograms_kernelINS1_34wrapped_radix_sort_onesweep_configINS0_14default_configEjN2at4cuda3cub6detail10OpaqueTypeILi8EEEEELb1EPKjmNS0_19identity_decomposerEEEvT1_PT2_SG_SG_T3_jj.numbered_sgpr, 39
	.set _ZN7rocprim17ROCPRIM_304000_NS6detail26onesweep_histograms_kernelINS1_34wrapped_radix_sort_onesweep_configINS0_14default_configEjN2at4cuda3cub6detail10OpaqueTypeILi8EEEEELb1EPKjmNS0_19identity_decomposerEEEvT1_PT2_SG_SG_T3_jj.num_named_barrier, 0
	.set _ZN7rocprim17ROCPRIM_304000_NS6detail26onesweep_histograms_kernelINS1_34wrapped_radix_sort_onesweep_configINS0_14default_configEjN2at4cuda3cub6detail10OpaqueTypeILi8EEEEELb1EPKjmNS0_19identity_decomposerEEEvT1_PT2_SG_SG_T3_jj.private_seg_size, 0
	.set _ZN7rocprim17ROCPRIM_304000_NS6detail26onesweep_histograms_kernelINS1_34wrapped_radix_sort_onesweep_configINS0_14default_configEjN2at4cuda3cub6detail10OpaqueTypeILi8EEEEELb1EPKjmNS0_19identity_decomposerEEEvT1_PT2_SG_SG_T3_jj.uses_vcc, 1
	.set _ZN7rocprim17ROCPRIM_304000_NS6detail26onesweep_histograms_kernelINS1_34wrapped_radix_sort_onesweep_configINS0_14default_configEjN2at4cuda3cub6detail10OpaqueTypeILi8EEEEELb1EPKjmNS0_19identity_decomposerEEEvT1_PT2_SG_SG_T3_jj.uses_flat_scratch, 0
	.set _ZN7rocprim17ROCPRIM_304000_NS6detail26onesweep_histograms_kernelINS1_34wrapped_radix_sort_onesweep_configINS0_14default_configEjN2at4cuda3cub6detail10OpaqueTypeILi8EEEEELb1EPKjmNS0_19identity_decomposerEEEvT1_PT2_SG_SG_T3_jj.has_dyn_sized_stack, 0
	.set _ZN7rocprim17ROCPRIM_304000_NS6detail26onesweep_histograms_kernelINS1_34wrapped_radix_sort_onesweep_configINS0_14default_configEjN2at4cuda3cub6detail10OpaqueTypeILi8EEEEELb1EPKjmNS0_19identity_decomposerEEEvT1_PT2_SG_SG_T3_jj.has_recursion, 0
	.set _ZN7rocprim17ROCPRIM_304000_NS6detail26onesweep_histograms_kernelINS1_34wrapped_radix_sort_onesweep_configINS0_14default_configEjN2at4cuda3cub6detail10OpaqueTypeILi8EEEEELb1EPKjmNS0_19identity_decomposerEEEvT1_PT2_SG_SG_T3_jj.has_indirect_call, 0
	.section	.AMDGPU.csdata,"",@progbits
; Kernel info:
; codeLenInByte = 4928
; TotalNumSgprs: 43
; NumVgprs: 23
; ScratchSize: 0
; MemoryBound: 0
; FloatMode: 240
; IeeeMode: 1
; LDSByteSize: 16384 bytes/workgroup (compile time only)
; SGPRBlocks: 12
; VGPRBlocks: 12
; NumSGPRsForWavesPerEU: 102
; NumVGPRsForWavesPerEU: 49
; Occupancy: 4
; WaveLimiterHint : 1
; COMPUTE_PGM_RSRC2:SCRATCH_EN: 0
; COMPUTE_PGM_RSRC2:USER_SGPR: 6
; COMPUTE_PGM_RSRC2:TRAP_HANDLER: 0
; COMPUTE_PGM_RSRC2:TGID_X_EN: 1
; COMPUTE_PGM_RSRC2:TGID_Y_EN: 0
; COMPUTE_PGM_RSRC2:TGID_Z_EN: 0
; COMPUTE_PGM_RSRC2:TIDIG_COMP_CNT: 0
	.section	.text._ZN7rocprim17ROCPRIM_304000_NS6detail31onesweep_scan_histograms_kernelINS1_34wrapped_radix_sort_onesweep_configINS0_14default_configEjN2at4cuda3cub6detail10OpaqueTypeILi8EEEEEmEEvPT0_,"axG",@progbits,_ZN7rocprim17ROCPRIM_304000_NS6detail31onesweep_scan_histograms_kernelINS1_34wrapped_radix_sort_onesweep_configINS0_14default_configEjN2at4cuda3cub6detail10OpaqueTypeILi8EEEEEmEEvPT0_,comdat
	.protected	_ZN7rocprim17ROCPRIM_304000_NS6detail31onesweep_scan_histograms_kernelINS1_34wrapped_radix_sort_onesweep_configINS0_14default_configEjN2at4cuda3cub6detail10OpaqueTypeILi8EEEEEmEEvPT0_ ; -- Begin function _ZN7rocprim17ROCPRIM_304000_NS6detail31onesweep_scan_histograms_kernelINS1_34wrapped_radix_sort_onesweep_configINS0_14default_configEjN2at4cuda3cub6detail10OpaqueTypeILi8EEEEEmEEvPT0_
	.globl	_ZN7rocprim17ROCPRIM_304000_NS6detail31onesweep_scan_histograms_kernelINS1_34wrapped_radix_sort_onesweep_configINS0_14default_configEjN2at4cuda3cub6detail10OpaqueTypeILi8EEEEEmEEvPT0_
	.p2align	8
	.type	_ZN7rocprim17ROCPRIM_304000_NS6detail31onesweep_scan_histograms_kernelINS1_34wrapped_radix_sort_onesweep_configINS0_14default_configEjN2at4cuda3cub6detail10OpaqueTypeILi8EEEEEmEEvPT0_,@function
_ZN7rocprim17ROCPRIM_304000_NS6detail31onesweep_scan_histograms_kernelINS1_34wrapped_radix_sort_onesweep_configINS0_14default_configEjN2at4cuda3cub6detail10OpaqueTypeILi8EEEEEmEEvPT0_: ; @_ZN7rocprim17ROCPRIM_304000_NS6detail31onesweep_scan_histograms_kernelINS1_34wrapped_radix_sort_onesweep_configINS0_14default_configEjN2at4cuda3cub6detail10OpaqueTypeILi8EEEEEmEEvPT0_
; %bb.0:
	s_load_dwordx2 s[0:1], s[4:5], 0x0
	s_lshl_b32 s2, s6, 8
	s_mov_b32 s3, 0
	s_lshl_b64 s[2:3], s[2:3], 3
	v_lshlrev_b32_e32 v5, 3, v0
	s_waitcnt lgkmcnt(0)
	s_add_u32 s2, s0, s2
	s_movk_i32 s0, 0x100
	s_addc_u32 s3, s1, s3
	v_cmp_gt_u32_e32 vcc, s0, v0
                                        ; implicit-def: $vgpr1_vgpr2
	s_and_saveexec_b64 s[0:1], vcc
	s_cbranch_execz .LBB11_2
; %bb.1:
	global_load_dwordx2 v[1:2], v5, s[2:3]
.LBB11_2:
	s_or_b64 exec, exec, s[0:1]
	v_mbcnt_lo_u32_b32 v3, -1, 0
	v_mbcnt_hi_u32_b32 v6, -1, v3
	v_and_b32_e32 v4, 15, v6
	s_waitcnt vmcnt(0)
	v_mov_b32_dpp v8, v1 row_shr:1 row_mask:0xf bank_mask:0xf
	v_mov_b32_dpp v7, v2 row_shr:1 row_mask:0xf bank_mask:0xf
	v_cmp_ne_u32_e64 s[0:1], 0, v4
	v_mov_b32_e32 v3, v1
	s_and_saveexec_b64 s[4:5], s[0:1]
; %bb.3:
	v_add_co_u32_e64 v3, s[0:1], v1, v8
	v_addc_co_u32_e64 v2, s[0:1], 0, v2, s[0:1]
	v_add_co_u32_e64 v1, s[0:1], 0, v3
	v_addc_co_u32_e64 v2, s[0:1], v7, v2, s[0:1]
; %bb.4:
	s_or_b64 exec, exec, s[4:5]
	v_mov_b32_dpp v8, v3 row_shr:2 row_mask:0xf bank_mask:0xf
	v_mov_b32_dpp v7, v2 row_shr:2 row_mask:0xf bank_mask:0xf
	v_cmp_lt_u32_e64 s[0:1], 1, v4
	s_and_saveexec_b64 s[4:5], s[0:1]
; %bb.5:
	v_add_co_u32_e64 v3, s[0:1], v1, v8
	v_addc_co_u32_e64 v2, s[0:1], 0, v2, s[0:1]
	v_add_co_u32_e64 v1, s[0:1], 0, v3
	v_addc_co_u32_e64 v2, s[0:1], v7, v2, s[0:1]
; %bb.6:
	s_or_b64 exec, exec, s[4:5]
	v_mov_b32_dpp v8, v3 row_shr:4 row_mask:0xf bank_mask:0xf
	v_mov_b32_dpp v7, v2 row_shr:4 row_mask:0xf bank_mask:0xf
	v_cmp_lt_u32_e64 s[0:1], 3, v4
	;; [unrolled: 11-line block ×3, first 2 shown]
	s_and_saveexec_b64 s[4:5], s[0:1]
; %bb.9:
	v_add_co_u32_e64 v3, s[0:1], v1, v8
	v_addc_co_u32_e64 v2, s[0:1], 0, v2, s[0:1]
	v_add_co_u32_e64 v1, s[0:1], 0, v3
	v_addc_co_u32_e64 v2, s[0:1], v7, v2, s[0:1]
; %bb.10:
	s_or_b64 exec, exec, s[4:5]
	v_and_b32_e32 v8, 16, v6
	v_mov_b32_dpp v7, v3 row_bcast:15 row_mask:0xf bank_mask:0xf
	v_mov_b32_dpp v4, v2 row_bcast:15 row_mask:0xf bank_mask:0xf
	v_cmp_ne_u32_e64 s[0:1], 0, v8
	s_and_saveexec_b64 s[4:5], s[0:1]
; %bb.11:
	v_add_co_u32_e64 v3, s[0:1], v1, v7
	v_addc_co_u32_e64 v2, s[0:1], 0, v2, s[0:1]
	v_add_co_u32_e64 v1, s[0:1], 0, v3
	v_addc_co_u32_e64 v2, s[0:1], v4, v2, s[0:1]
; %bb.12:
	s_or_b64 exec, exec, s[4:5]
	v_mov_b32_dpp v3, v3 row_bcast:31 row_mask:0xf bank_mask:0xf
	v_add_co_u32_e64 v3, s[0:1], v1, v3
	v_addc_co_u32_e64 v7, s[0:1], 0, v2, s[0:1]
	v_mov_b32_dpp v4, v2 row_bcast:31 row_mask:0xf bank_mask:0xf
	v_add_co_u32_e64 v3, s[0:1], 0, v3
	v_addc_co_u32_e64 v4, s[0:1], v7, v4, s[0:1]
	v_cmp_lt_u32_e64 s[0:1], 31, v6
	v_cndmask_b32_e64 v1, v1, v3, s[0:1]
	v_or_b32_e32 v3, 63, v0
	v_cndmask_b32_e64 v2, v2, v4, s[0:1]
	v_lshrrev_b32_e32 v7, 6, v0
	v_cmp_eq_u32_e64 s[0:1], v0, v3
	s_and_saveexec_b64 s[4:5], s[0:1]
; %bb.13:
	v_lshlrev_b32_e32 v3, 3, v7
	ds_write_b64 v3, v[1:2]
; %bb.14:
	s_or_b64 exec, exec, s[4:5]
	v_cmp_gt_u32_e64 s[0:1], 4, v0
	s_waitcnt lgkmcnt(0)
	s_barrier
	s_and_saveexec_b64 s[4:5], s[0:1]
	s_cbranch_execz .LBB11_18
; %bb.15:
	ds_read_b64 v[3:4], v5
	v_and_b32_e32 v8, 3, v6
	v_cmp_ne_u32_e64 s[0:1], 0, v8
	s_waitcnt lgkmcnt(0)
	v_mov_b32_dpp v11, v3 row_shr:1 row_mask:0xf bank_mask:0xf
	v_mov_b32_dpp v10, v4 row_shr:1 row_mask:0xf bank_mask:0xf
	v_mov_b32_e32 v9, v3
	s_and_saveexec_b64 s[6:7], s[0:1]
; %bb.16:
	v_add_co_u32_e64 v9, s[0:1], v3, v11
	v_addc_co_u32_e64 v4, s[0:1], 0, v4, s[0:1]
	v_add_co_u32_e64 v3, s[0:1], 0, v9
	v_addc_co_u32_e64 v4, s[0:1], v10, v4, s[0:1]
; %bb.17:
	s_or_b64 exec, exec, s[6:7]
	v_mov_b32_dpp v9, v9 row_shr:2 row_mask:0xf bank_mask:0xf
	v_cmp_lt_u32_e64 s[0:1], 1, v8
	v_mov_b32_dpp v10, v4 row_shr:2 row_mask:0xf bank_mask:0xf
	v_cndmask_b32_e64 v9, 0, v9, s[0:1]
	v_cndmask_b32_e64 v8, 0, v10, s[0:1]
	v_add_co_u32_e64 v3, s[0:1], v9, v3
	v_addc_co_u32_e64 v4, s[0:1], v8, v4, s[0:1]
	ds_write_b64 v5, v[3:4]
.LBB11_18:
	s_or_b64 exec, exec, s[4:5]
	v_mov_b32_e32 v3, 0
	v_mov_b32_e32 v4, 0
	v_cmp_lt_u32_e64 s[0:1], 63, v0
	s_waitcnt lgkmcnt(0)
	s_barrier
	s_and_saveexec_b64 s[4:5], s[0:1]
; %bb.19:
	v_lshl_add_u32 v0, v7, 3, -8
	ds_read_b64 v[3:4], v0
; %bb.20:
	s_or_b64 exec, exec, s[4:5]
	s_waitcnt lgkmcnt(0)
	v_add_co_u32_e64 v0, s[0:1], v3, v1
	v_addc_co_u32_e64 v1, s[0:1], v4, v2, s[0:1]
	v_add_u32_e32 v2, -1, v6
	v_and_b32_e32 v7, 64, v6
	v_cmp_lt_i32_e64 s[0:1], v2, v7
	v_cndmask_b32_e64 v2, v2, v6, s[0:1]
	v_lshlrev_b32_e32 v2, 2, v2
	ds_bpermute_b32 v0, v2, v0
	ds_bpermute_b32 v1, v2, v1
	s_and_saveexec_b64 s[0:1], vcc
	s_cbranch_execz .LBB11_22
; %bb.21:
	v_cmp_eq_u32_e32 vcc, 0, v6
	s_waitcnt lgkmcnt(0)
	v_cndmask_b32_e32 v1, v1, v4, vcc
	v_cndmask_b32_e32 v0, v0, v3, vcc
	global_store_dwordx2 v5, v[0:1], s[2:3]
.LBB11_22:
	s_endpgm
	.section	.rodata,"a",@progbits
	.p2align	6, 0x0
	.amdhsa_kernel _ZN7rocprim17ROCPRIM_304000_NS6detail31onesweep_scan_histograms_kernelINS1_34wrapped_radix_sort_onesweep_configINS0_14default_configEjN2at4cuda3cub6detail10OpaqueTypeILi8EEEEEmEEvPT0_
		.amdhsa_group_segment_fixed_size 32
		.amdhsa_private_segment_fixed_size 0
		.amdhsa_kernarg_size 8
		.amdhsa_user_sgpr_count 6
		.amdhsa_user_sgpr_private_segment_buffer 1
		.amdhsa_user_sgpr_dispatch_ptr 0
		.amdhsa_user_sgpr_queue_ptr 0
		.amdhsa_user_sgpr_kernarg_segment_ptr 1
		.amdhsa_user_sgpr_dispatch_id 0
		.amdhsa_user_sgpr_flat_scratch_init 0
		.amdhsa_user_sgpr_private_segment_size 0
		.amdhsa_uses_dynamic_stack 0
		.amdhsa_system_sgpr_private_segment_wavefront_offset 0
		.amdhsa_system_sgpr_workgroup_id_x 1
		.amdhsa_system_sgpr_workgroup_id_y 0
		.amdhsa_system_sgpr_workgroup_id_z 0
		.amdhsa_system_sgpr_workgroup_info 0
		.amdhsa_system_vgpr_workitem_id 0
		.amdhsa_next_free_vgpr 12
		.amdhsa_next_free_sgpr 8
		.amdhsa_reserve_vcc 1
		.amdhsa_reserve_flat_scratch 0
		.amdhsa_float_round_mode_32 0
		.amdhsa_float_round_mode_16_64 0
		.amdhsa_float_denorm_mode_32 3
		.amdhsa_float_denorm_mode_16_64 3
		.amdhsa_dx10_clamp 1
		.amdhsa_ieee_mode 1
		.amdhsa_fp16_overflow 0
		.amdhsa_exception_fp_ieee_invalid_op 0
		.amdhsa_exception_fp_denorm_src 0
		.amdhsa_exception_fp_ieee_div_zero 0
		.amdhsa_exception_fp_ieee_overflow 0
		.amdhsa_exception_fp_ieee_underflow 0
		.amdhsa_exception_fp_ieee_inexact 0
		.amdhsa_exception_int_div_zero 0
	.end_amdhsa_kernel
	.section	.text._ZN7rocprim17ROCPRIM_304000_NS6detail31onesweep_scan_histograms_kernelINS1_34wrapped_radix_sort_onesweep_configINS0_14default_configEjN2at4cuda3cub6detail10OpaqueTypeILi8EEEEEmEEvPT0_,"axG",@progbits,_ZN7rocprim17ROCPRIM_304000_NS6detail31onesweep_scan_histograms_kernelINS1_34wrapped_radix_sort_onesweep_configINS0_14default_configEjN2at4cuda3cub6detail10OpaqueTypeILi8EEEEEmEEvPT0_,comdat
.Lfunc_end11:
	.size	_ZN7rocprim17ROCPRIM_304000_NS6detail31onesweep_scan_histograms_kernelINS1_34wrapped_radix_sort_onesweep_configINS0_14default_configEjN2at4cuda3cub6detail10OpaqueTypeILi8EEEEEmEEvPT0_, .Lfunc_end11-_ZN7rocprim17ROCPRIM_304000_NS6detail31onesweep_scan_histograms_kernelINS1_34wrapped_radix_sort_onesweep_configINS0_14default_configEjN2at4cuda3cub6detail10OpaqueTypeILi8EEEEEmEEvPT0_
                                        ; -- End function
	.set _ZN7rocprim17ROCPRIM_304000_NS6detail31onesweep_scan_histograms_kernelINS1_34wrapped_radix_sort_onesweep_configINS0_14default_configEjN2at4cuda3cub6detail10OpaqueTypeILi8EEEEEmEEvPT0_.num_vgpr, 12
	.set _ZN7rocprim17ROCPRIM_304000_NS6detail31onesweep_scan_histograms_kernelINS1_34wrapped_radix_sort_onesweep_configINS0_14default_configEjN2at4cuda3cub6detail10OpaqueTypeILi8EEEEEmEEvPT0_.num_agpr, 0
	.set _ZN7rocprim17ROCPRIM_304000_NS6detail31onesweep_scan_histograms_kernelINS1_34wrapped_radix_sort_onesweep_configINS0_14default_configEjN2at4cuda3cub6detail10OpaqueTypeILi8EEEEEmEEvPT0_.numbered_sgpr, 8
	.set _ZN7rocprim17ROCPRIM_304000_NS6detail31onesweep_scan_histograms_kernelINS1_34wrapped_radix_sort_onesweep_configINS0_14default_configEjN2at4cuda3cub6detail10OpaqueTypeILi8EEEEEmEEvPT0_.num_named_barrier, 0
	.set _ZN7rocprim17ROCPRIM_304000_NS6detail31onesweep_scan_histograms_kernelINS1_34wrapped_radix_sort_onesweep_configINS0_14default_configEjN2at4cuda3cub6detail10OpaqueTypeILi8EEEEEmEEvPT0_.private_seg_size, 0
	.set _ZN7rocprim17ROCPRIM_304000_NS6detail31onesweep_scan_histograms_kernelINS1_34wrapped_radix_sort_onesweep_configINS0_14default_configEjN2at4cuda3cub6detail10OpaqueTypeILi8EEEEEmEEvPT0_.uses_vcc, 1
	.set _ZN7rocprim17ROCPRIM_304000_NS6detail31onesweep_scan_histograms_kernelINS1_34wrapped_radix_sort_onesweep_configINS0_14default_configEjN2at4cuda3cub6detail10OpaqueTypeILi8EEEEEmEEvPT0_.uses_flat_scratch, 0
	.set _ZN7rocprim17ROCPRIM_304000_NS6detail31onesweep_scan_histograms_kernelINS1_34wrapped_radix_sort_onesweep_configINS0_14default_configEjN2at4cuda3cub6detail10OpaqueTypeILi8EEEEEmEEvPT0_.has_dyn_sized_stack, 0
	.set _ZN7rocprim17ROCPRIM_304000_NS6detail31onesweep_scan_histograms_kernelINS1_34wrapped_radix_sort_onesweep_configINS0_14default_configEjN2at4cuda3cub6detail10OpaqueTypeILi8EEEEEmEEvPT0_.has_recursion, 0
	.set _ZN7rocprim17ROCPRIM_304000_NS6detail31onesweep_scan_histograms_kernelINS1_34wrapped_radix_sort_onesweep_configINS0_14default_configEjN2at4cuda3cub6detail10OpaqueTypeILi8EEEEEmEEvPT0_.has_indirect_call, 0
	.section	.AMDGPU.csdata,"",@progbits
; Kernel info:
; codeLenInByte = 848
; TotalNumSgprs: 12
; NumVgprs: 12
; ScratchSize: 0
; MemoryBound: 0
; FloatMode: 240
; IeeeMode: 1
; LDSByteSize: 32 bytes/workgroup (compile time only)
; SGPRBlocks: 1
; VGPRBlocks: 2
; NumSGPRsForWavesPerEU: 12
; NumVGPRsForWavesPerEU: 12
; Occupancy: 10
; WaveLimiterHint : 0
; COMPUTE_PGM_RSRC2:SCRATCH_EN: 0
; COMPUTE_PGM_RSRC2:USER_SGPR: 6
; COMPUTE_PGM_RSRC2:TRAP_HANDLER: 0
; COMPUTE_PGM_RSRC2:TGID_X_EN: 1
; COMPUTE_PGM_RSRC2:TGID_Y_EN: 0
; COMPUTE_PGM_RSRC2:TGID_Z_EN: 0
; COMPUTE_PGM_RSRC2:TIDIG_COMP_CNT: 0
	.section	.text._ZN7rocprim17ROCPRIM_304000_NS6detail16transform_kernelINS1_24wrapped_transform_configINS0_14default_configEjEEjPKjPjNS0_8identityIjEEEEvT1_mT2_T3_,"axG",@progbits,_ZN7rocprim17ROCPRIM_304000_NS6detail16transform_kernelINS1_24wrapped_transform_configINS0_14default_configEjEEjPKjPjNS0_8identityIjEEEEvT1_mT2_T3_,comdat
	.protected	_ZN7rocprim17ROCPRIM_304000_NS6detail16transform_kernelINS1_24wrapped_transform_configINS0_14default_configEjEEjPKjPjNS0_8identityIjEEEEvT1_mT2_T3_ ; -- Begin function _ZN7rocprim17ROCPRIM_304000_NS6detail16transform_kernelINS1_24wrapped_transform_configINS0_14default_configEjEEjPKjPjNS0_8identityIjEEEEvT1_mT2_T3_
	.globl	_ZN7rocprim17ROCPRIM_304000_NS6detail16transform_kernelINS1_24wrapped_transform_configINS0_14default_configEjEEjPKjPjNS0_8identityIjEEEEvT1_mT2_T3_
	.p2align	8
	.type	_ZN7rocprim17ROCPRIM_304000_NS6detail16transform_kernelINS1_24wrapped_transform_configINS0_14default_configEjEEjPKjPjNS0_8identityIjEEEEvT1_mT2_T3_,@function
_ZN7rocprim17ROCPRIM_304000_NS6detail16transform_kernelINS1_24wrapped_transform_configINS0_14default_configEjEEjPKjPjNS0_8identityIjEEEEvT1_mT2_T3_: ; @_ZN7rocprim17ROCPRIM_304000_NS6detail16transform_kernelINS1_24wrapped_transform_configINS0_14default_configEjEEjPKjPjNS0_8identityIjEEEEvT1_mT2_T3_
; %bb.0:
	s_load_dword s7, s[4:5], 0x20
	s_load_dwordx4 s[0:3], s[4:5], 0x0
	s_load_dwordx2 s[8:9], s[4:5], 0x10
	s_lshl_b32 s10, s6, 11
	s_mov_b32 s11, 0
	s_waitcnt lgkmcnt(0)
	s_add_i32 s7, s7, -1
	s_lshl_b64 s[4:5], s[10:11], 2
	s_add_u32 s0, s0, s4
	s_addc_u32 s1, s1, s5
	v_lshlrev_b32_e32 v5, 2, v0
	v_mov_b32_e32 v2, s1
	v_add_co_u32_e32 v1, vcc, s0, v5
	s_cmp_lg_u32 s6, s7
	v_addc_co_u32_e32 v2, vcc, 0, v2, vcc
	s_cbranch_scc0 .LBB12_2
; %bb.1:
	v_add_co_u32_e32 v3, vcc, 0x1000, v1
	global_load_dword v6, v[1:2], off
	v_addc_co_u32_e32 v4, vcc, 0, v2, vcc
	global_load_dword v3, v[3:4], off
	s_add_u32 s0, s8, s4
	s_addc_u32 s1, s9, s5
	s_mov_b64 s[6:7], -1
	s_waitcnt vmcnt(1)
	global_store_dword v5, v6, s[0:1]
	s_cbranch_execz .LBB12_3
	s_branch .LBB12_10
.LBB12_2:
	s_mov_b64 s[6:7], 0
                                        ; implicit-def: $vgpr3
.LBB12_3:
	s_sub_i32 s10, s2, s10
	s_waitcnt vmcnt(1)
	v_mov_b32_e32 v3, 0
	v_cmp_gt_u32_e64 s[0:1], s10, v0
	v_mov_b32_e32 v4, v3
	s_and_saveexec_b64 s[2:3], s[0:1]
	s_cbranch_execz .LBB12_5
; %bb.4:
	global_load_dword v6, v[1:2], off
	v_mov_b32_e32 v7, v3
	s_waitcnt vmcnt(0)
	v_mov_b32_e32 v3, v6
	v_mov_b32_e32 v4, v7
.LBB12_5:
	s_or_b64 exec, exec, s[2:3]
	v_or_b32_e32 v0, 0x400, v0
	v_cmp_gt_u32_e64 s[2:3], s10, v0
	s_and_saveexec_b64 s[10:11], s[2:3]
	s_cbranch_execnz .LBB12_13
; %bb.6:
	s_or_b64 exec, exec, s[10:11]
	v_cndmask_b32_e64 v0, 0, v3, s[0:1]
	s_and_saveexec_b64 s[10:11], s[0:1]
	s_cbranch_execnz .LBB12_14
.LBB12_7:
	s_or_b64 exec, exec, s[10:11]
                                        ; implicit-def: $vgpr3
	s_and_saveexec_b64 s[0:1], s[2:3]
	s_cbranch_execz .LBB12_9
.LBB12_8:
	s_waitcnt vmcnt(0)
	v_cndmask_b32_e64 v3, 0, v4, s[2:3]
	s_or_b64 s[6:7], s[6:7], exec
.LBB12_9:
	s_or_b64 exec, exec, s[0:1]
.LBB12_10:
	s_and_saveexec_b64 s[0:1], s[6:7]
	s_cbranch_execnz .LBB12_12
; %bb.11:
	s_endpgm
.LBB12_12:
	s_add_u32 s0, s8, s4
	s_addc_u32 s1, s9, s5
	v_mov_b32_e32 v0, s1
	v_add_co_u32_e32 v1, vcc, s0, v5
	v_addc_co_u32_e32 v2, vcc, 0, v0, vcc
	v_add_co_u32_e32 v0, vcc, 0x1000, v1
	v_addc_co_u32_e32 v1, vcc, 0, v2, vcc
	s_waitcnt vmcnt(1)
	global_store_dword v[0:1], v3, off
	s_endpgm
.LBB12_13:
	v_add_co_u32_e32 v0, vcc, 0x1000, v1
	v_addc_co_u32_e32 v1, vcc, 0, v2, vcc
	global_load_dword v4, v[0:1], off
	s_or_b64 exec, exec, s[10:11]
	v_cndmask_b32_e64 v0, 0, v3, s[0:1]
	s_and_saveexec_b64 s[10:11], s[0:1]
	s_cbranch_execz .LBB12_7
.LBB12_14:
	s_add_u32 s0, s8, s4
	s_addc_u32 s1, s9, s5
	global_store_dword v5, v0, s[0:1]
	s_or_b64 exec, exec, s[10:11]
                                        ; implicit-def: $vgpr3
	s_and_saveexec_b64 s[0:1], s[2:3]
	s_cbranch_execnz .LBB12_8
	s_branch .LBB12_9
	.section	.rodata,"a",@progbits
	.p2align	6, 0x0
	.amdhsa_kernel _ZN7rocprim17ROCPRIM_304000_NS6detail16transform_kernelINS1_24wrapped_transform_configINS0_14default_configEjEEjPKjPjNS0_8identityIjEEEEvT1_mT2_T3_
		.amdhsa_group_segment_fixed_size 0
		.amdhsa_private_segment_fixed_size 0
		.amdhsa_kernarg_size 288
		.amdhsa_user_sgpr_count 6
		.amdhsa_user_sgpr_private_segment_buffer 1
		.amdhsa_user_sgpr_dispatch_ptr 0
		.amdhsa_user_sgpr_queue_ptr 0
		.amdhsa_user_sgpr_kernarg_segment_ptr 1
		.amdhsa_user_sgpr_dispatch_id 0
		.amdhsa_user_sgpr_flat_scratch_init 0
		.amdhsa_user_sgpr_private_segment_size 0
		.amdhsa_uses_dynamic_stack 0
		.amdhsa_system_sgpr_private_segment_wavefront_offset 0
		.amdhsa_system_sgpr_workgroup_id_x 1
		.amdhsa_system_sgpr_workgroup_id_y 0
		.amdhsa_system_sgpr_workgroup_id_z 0
		.amdhsa_system_sgpr_workgroup_info 0
		.amdhsa_system_vgpr_workitem_id 0
		.amdhsa_next_free_vgpr 8
		.amdhsa_next_free_sgpr 12
		.amdhsa_reserve_vcc 1
		.amdhsa_reserve_flat_scratch 0
		.amdhsa_float_round_mode_32 0
		.amdhsa_float_round_mode_16_64 0
		.amdhsa_float_denorm_mode_32 3
		.amdhsa_float_denorm_mode_16_64 3
		.amdhsa_dx10_clamp 1
		.amdhsa_ieee_mode 1
		.amdhsa_fp16_overflow 0
		.amdhsa_exception_fp_ieee_invalid_op 0
		.amdhsa_exception_fp_denorm_src 0
		.amdhsa_exception_fp_ieee_div_zero 0
		.amdhsa_exception_fp_ieee_overflow 0
		.amdhsa_exception_fp_ieee_underflow 0
		.amdhsa_exception_fp_ieee_inexact 0
		.amdhsa_exception_int_div_zero 0
	.end_amdhsa_kernel
	.section	.text._ZN7rocprim17ROCPRIM_304000_NS6detail16transform_kernelINS1_24wrapped_transform_configINS0_14default_configEjEEjPKjPjNS0_8identityIjEEEEvT1_mT2_T3_,"axG",@progbits,_ZN7rocprim17ROCPRIM_304000_NS6detail16transform_kernelINS1_24wrapped_transform_configINS0_14default_configEjEEjPKjPjNS0_8identityIjEEEEvT1_mT2_T3_,comdat
.Lfunc_end12:
	.size	_ZN7rocprim17ROCPRIM_304000_NS6detail16transform_kernelINS1_24wrapped_transform_configINS0_14default_configEjEEjPKjPjNS0_8identityIjEEEEvT1_mT2_T3_, .Lfunc_end12-_ZN7rocprim17ROCPRIM_304000_NS6detail16transform_kernelINS1_24wrapped_transform_configINS0_14default_configEjEEjPKjPjNS0_8identityIjEEEEvT1_mT2_T3_
                                        ; -- End function
	.set _ZN7rocprim17ROCPRIM_304000_NS6detail16transform_kernelINS1_24wrapped_transform_configINS0_14default_configEjEEjPKjPjNS0_8identityIjEEEEvT1_mT2_T3_.num_vgpr, 8
	.set _ZN7rocprim17ROCPRIM_304000_NS6detail16transform_kernelINS1_24wrapped_transform_configINS0_14default_configEjEEjPKjPjNS0_8identityIjEEEEvT1_mT2_T3_.num_agpr, 0
	.set _ZN7rocprim17ROCPRIM_304000_NS6detail16transform_kernelINS1_24wrapped_transform_configINS0_14default_configEjEEjPKjPjNS0_8identityIjEEEEvT1_mT2_T3_.numbered_sgpr, 12
	.set _ZN7rocprim17ROCPRIM_304000_NS6detail16transform_kernelINS1_24wrapped_transform_configINS0_14default_configEjEEjPKjPjNS0_8identityIjEEEEvT1_mT2_T3_.num_named_barrier, 0
	.set _ZN7rocprim17ROCPRIM_304000_NS6detail16transform_kernelINS1_24wrapped_transform_configINS0_14default_configEjEEjPKjPjNS0_8identityIjEEEEvT1_mT2_T3_.private_seg_size, 0
	.set _ZN7rocprim17ROCPRIM_304000_NS6detail16transform_kernelINS1_24wrapped_transform_configINS0_14default_configEjEEjPKjPjNS0_8identityIjEEEEvT1_mT2_T3_.uses_vcc, 1
	.set _ZN7rocprim17ROCPRIM_304000_NS6detail16transform_kernelINS1_24wrapped_transform_configINS0_14default_configEjEEjPKjPjNS0_8identityIjEEEEvT1_mT2_T3_.uses_flat_scratch, 0
	.set _ZN7rocprim17ROCPRIM_304000_NS6detail16transform_kernelINS1_24wrapped_transform_configINS0_14default_configEjEEjPKjPjNS0_8identityIjEEEEvT1_mT2_T3_.has_dyn_sized_stack, 0
	.set _ZN7rocprim17ROCPRIM_304000_NS6detail16transform_kernelINS1_24wrapped_transform_configINS0_14default_configEjEEjPKjPjNS0_8identityIjEEEEvT1_mT2_T3_.has_recursion, 0
	.set _ZN7rocprim17ROCPRIM_304000_NS6detail16transform_kernelINS1_24wrapped_transform_configINS0_14default_configEjEEjPKjPjNS0_8identityIjEEEEvT1_mT2_T3_.has_indirect_call, 0
	.section	.AMDGPU.csdata,"",@progbits
; Kernel info:
; codeLenInByte = 408
; TotalNumSgprs: 16
; NumVgprs: 8
; ScratchSize: 0
; MemoryBound: 0
; FloatMode: 240
; IeeeMode: 1
; LDSByteSize: 0 bytes/workgroup (compile time only)
; SGPRBlocks: 1
; VGPRBlocks: 1
; NumSGPRsForWavesPerEU: 16
; NumVGPRsForWavesPerEU: 8
; Occupancy: 10
; WaveLimiterHint : 1
; COMPUTE_PGM_RSRC2:SCRATCH_EN: 0
; COMPUTE_PGM_RSRC2:USER_SGPR: 6
; COMPUTE_PGM_RSRC2:TRAP_HANDLER: 0
; COMPUTE_PGM_RSRC2:TGID_X_EN: 1
; COMPUTE_PGM_RSRC2:TGID_Y_EN: 0
; COMPUTE_PGM_RSRC2:TGID_Z_EN: 0
; COMPUTE_PGM_RSRC2:TIDIG_COMP_CNT: 0
	.section	.text._ZN7rocprim17ROCPRIM_304000_NS6detail16transform_kernelINS1_24wrapped_transform_configINS0_14default_configEN2at4cuda3cub6detail10OpaqueTypeILi8EEEEESA_PKSA_PSA_NS0_8identityISA_EEEEvT1_mT2_T3_,"axG",@progbits,_ZN7rocprim17ROCPRIM_304000_NS6detail16transform_kernelINS1_24wrapped_transform_configINS0_14default_configEN2at4cuda3cub6detail10OpaqueTypeILi8EEEEESA_PKSA_PSA_NS0_8identityISA_EEEEvT1_mT2_T3_,comdat
	.protected	_ZN7rocprim17ROCPRIM_304000_NS6detail16transform_kernelINS1_24wrapped_transform_configINS0_14default_configEN2at4cuda3cub6detail10OpaqueTypeILi8EEEEESA_PKSA_PSA_NS0_8identityISA_EEEEvT1_mT2_T3_ ; -- Begin function _ZN7rocprim17ROCPRIM_304000_NS6detail16transform_kernelINS1_24wrapped_transform_configINS0_14default_configEN2at4cuda3cub6detail10OpaqueTypeILi8EEEEESA_PKSA_PSA_NS0_8identityISA_EEEEvT1_mT2_T3_
	.globl	_ZN7rocprim17ROCPRIM_304000_NS6detail16transform_kernelINS1_24wrapped_transform_configINS0_14default_configEN2at4cuda3cub6detail10OpaqueTypeILi8EEEEESA_PKSA_PSA_NS0_8identityISA_EEEEvT1_mT2_T3_
	.p2align	8
	.type	_ZN7rocprim17ROCPRIM_304000_NS6detail16transform_kernelINS1_24wrapped_transform_configINS0_14default_configEN2at4cuda3cub6detail10OpaqueTypeILi8EEEEESA_PKSA_PSA_NS0_8identityISA_EEEEvT1_mT2_T3_,@function
_ZN7rocprim17ROCPRIM_304000_NS6detail16transform_kernelINS1_24wrapped_transform_configINS0_14default_configEN2at4cuda3cub6detail10OpaqueTypeILi8EEEEESA_PKSA_PSA_NS0_8identityISA_EEEEvT1_mT2_T3_: ; @_ZN7rocprim17ROCPRIM_304000_NS6detail16transform_kernelINS1_24wrapped_transform_configINS0_14default_configEN2at4cuda3cub6detail10OpaqueTypeILi8EEEEESA_PKSA_PSA_NS0_8identityISA_EEEEvT1_mT2_T3_
; %bb.0:
	s_load_dword s7, s[4:5], 0x20
	s_load_dwordx4 s[0:3], s[4:5], 0x0
	s_lshl_b32 s8, s6, 9
	s_waitcnt lgkmcnt(0)
	s_add_i32 s7, s7, -1
	s_cmp_lg_u32 s6, s7
	s_cselect_b64 s[6:7], -1, 0
	s_sub_i32 s2, s2, s8
	v_cmp_gt_u32_e32 vcc, s2, v0
	s_or_b64 s[2:3], vcc, s[6:7]
	s_and_saveexec_b64 s[6:7], s[2:3]
	s_cbranch_execz .LBB13_2
; %bb.1:
	s_load_dwordx2 s[2:3], s[4:5], 0x10
	s_mov_b32 s9, 0
	s_lshl_b64 s[4:5], s[8:9], 3
	v_lshlrev_b32_e32 v2, 3, v0
	s_waitcnt lgkmcnt(0)
	s_add_u32 s2, s2, s4
	s_addc_u32 s3, s3, s5
	s_add_u32 s0, s0, s4
	s_addc_u32 s1, s1, s5
	global_load_dwordx2 v[0:1], v2, s[0:1]
	s_waitcnt vmcnt(0)
	global_store_dwordx2 v2, v[0:1], s[2:3]
.LBB13_2:
	s_endpgm
	.section	.rodata,"a",@progbits
	.p2align	6, 0x0
	.amdhsa_kernel _ZN7rocprim17ROCPRIM_304000_NS6detail16transform_kernelINS1_24wrapped_transform_configINS0_14default_configEN2at4cuda3cub6detail10OpaqueTypeILi8EEEEESA_PKSA_PSA_NS0_8identityISA_EEEEvT1_mT2_T3_
		.amdhsa_group_segment_fixed_size 0
		.amdhsa_private_segment_fixed_size 0
		.amdhsa_kernarg_size 288
		.amdhsa_user_sgpr_count 6
		.amdhsa_user_sgpr_private_segment_buffer 1
		.amdhsa_user_sgpr_dispatch_ptr 0
		.amdhsa_user_sgpr_queue_ptr 0
		.amdhsa_user_sgpr_kernarg_segment_ptr 1
		.amdhsa_user_sgpr_dispatch_id 0
		.amdhsa_user_sgpr_flat_scratch_init 0
		.amdhsa_user_sgpr_private_segment_size 0
		.amdhsa_uses_dynamic_stack 0
		.amdhsa_system_sgpr_private_segment_wavefront_offset 0
		.amdhsa_system_sgpr_workgroup_id_x 1
		.amdhsa_system_sgpr_workgroup_id_y 0
		.amdhsa_system_sgpr_workgroup_id_z 0
		.amdhsa_system_sgpr_workgroup_info 0
		.amdhsa_system_vgpr_workitem_id 0
		.amdhsa_next_free_vgpr 3
		.amdhsa_next_free_sgpr 10
		.amdhsa_reserve_vcc 1
		.amdhsa_reserve_flat_scratch 0
		.amdhsa_float_round_mode_32 0
		.amdhsa_float_round_mode_16_64 0
		.amdhsa_float_denorm_mode_32 3
		.amdhsa_float_denorm_mode_16_64 3
		.amdhsa_dx10_clamp 1
		.amdhsa_ieee_mode 1
		.amdhsa_fp16_overflow 0
		.amdhsa_exception_fp_ieee_invalid_op 0
		.amdhsa_exception_fp_denorm_src 0
		.amdhsa_exception_fp_ieee_div_zero 0
		.amdhsa_exception_fp_ieee_overflow 0
		.amdhsa_exception_fp_ieee_underflow 0
		.amdhsa_exception_fp_ieee_inexact 0
		.amdhsa_exception_int_div_zero 0
	.end_amdhsa_kernel
	.section	.text._ZN7rocprim17ROCPRIM_304000_NS6detail16transform_kernelINS1_24wrapped_transform_configINS0_14default_configEN2at4cuda3cub6detail10OpaqueTypeILi8EEEEESA_PKSA_PSA_NS0_8identityISA_EEEEvT1_mT2_T3_,"axG",@progbits,_ZN7rocprim17ROCPRIM_304000_NS6detail16transform_kernelINS1_24wrapped_transform_configINS0_14default_configEN2at4cuda3cub6detail10OpaqueTypeILi8EEEEESA_PKSA_PSA_NS0_8identityISA_EEEEvT1_mT2_T3_,comdat
.Lfunc_end13:
	.size	_ZN7rocprim17ROCPRIM_304000_NS6detail16transform_kernelINS1_24wrapped_transform_configINS0_14default_configEN2at4cuda3cub6detail10OpaqueTypeILi8EEEEESA_PKSA_PSA_NS0_8identityISA_EEEEvT1_mT2_T3_, .Lfunc_end13-_ZN7rocprim17ROCPRIM_304000_NS6detail16transform_kernelINS1_24wrapped_transform_configINS0_14default_configEN2at4cuda3cub6detail10OpaqueTypeILi8EEEEESA_PKSA_PSA_NS0_8identityISA_EEEEvT1_mT2_T3_
                                        ; -- End function
	.set _ZN7rocprim17ROCPRIM_304000_NS6detail16transform_kernelINS1_24wrapped_transform_configINS0_14default_configEN2at4cuda3cub6detail10OpaqueTypeILi8EEEEESA_PKSA_PSA_NS0_8identityISA_EEEEvT1_mT2_T3_.num_vgpr, 3
	.set _ZN7rocprim17ROCPRIM_304000_NS6detail16transform_kernelINS1_24wrapped_transform_configINS0_14default_configEN2at4cuda3cub6detail10OpaqueTypeILi8EEEEESA_PKSA_PSA_NS0_8identityISA_EEEEvT1_mT2_T3_.num_agpr, 0
	.set _ZN7rocprim17ROCPRIM_304000_NS6detail16transform_kernelINS1_24wrapped_transform_configINS0_14default_configEN2at4cuda3cub6detail10OpaqueTypeILi8EEEEESA_PKSA_PSA_NS0_8identityISA_EEEEvT1_mT2_T3_.numbered_sgpr, 10
	.set _ZN7rocprim17ROCPRIM_304000_NS6detail16transform_kernelINS1_24wrapped_transform_configINS0_14default_configEN2at4cuda3cub6detail10OpaqueTypeILi8EEEEESA_PKSA_PSA_NS0_8identityISA_EEEEvT1_mT2_T3_.num_named_barrier, 0
	.set _ZN7rocprim17ROCPRIM_304000_NS6detail16transform_kernelINS1_24wrapped_transform_configINS0_14default_configEN2at4cuda3cub6detail10OpaqueTypeILi8EEEEESA_PKSA_PSA_NS0_8identityISA_EEEEvT1_mT2_T3_.private_seg_size, 0
	.set _ZN7rocprim17ROCPRIM_304000_NS6detail16transform_kernelINS1_24wrapped_transform_configINS0_14default_configEN2at4cuda3cub6detail10OpaqueTypeILi8EEEEESA_PKSA_PSA_NS0_8identityISA_EEEEvT1_mT2_T3_.uses_vcc, 1
	.set _ZN7rocprim17ROCPRIM_304000_NS6detail16transform_kernelINS1_24wrapped_transform_configINS0_14default_configEN2at4cuda3cub6detail10OpaqueTypeILi8EEEEESA_PKSA_PSA_NS0_8identityISA_EEEEvT1_mT2_T3_.uses_flat_scratch, 0
	.set _ZN7rocprim17ROCPRIM_304000_NS6detail16transform_kernelINS1_24wrapped_transform_configINS0_14default_configEN2at4cuda3cub6detail10OpaqueTypeILi8EEEEESA_PKSA_PSA_NS0_8identityISA_EEEEvT1_mT2_T3_.has_dyn_sized_stack, 0
	.set _ZN7rocprim17ROCPRIM_304000_NS6detail16transform_kernelINS1_24wrapped_transform_configINS0_14default_configEN2at4cuda3cub6detail10OpaqueTypeILi8EEEEESA_PKSA_PSA_NS0_8identityISA_EEEEvT1_mT2_T3_.has_recursion, 0
	.set _ZN7rocprim17ROCPRIM_304000_NS6detail16transform_kernelINS1_24wrapped_transform_configINS0_14default_configEN2at4cuda3cub6detail10OpaqueTypeILi8EEEEESA_PKSA_PSA_NS0_8identityISA_EEEEvT1_mT2_T3_.has_indirect_call, 0
	.section	.AMDGPU.csdata,"",@progbits
; Kernel info:
; codeLenInByte = 120
; TotalNumSgprs: 14
; NumVgprs: 3
; ScratchSize: 0
; MemoryBound: 0
; FloatMode: 240
; IeeeMode: 1
; LDSByteSize: 0 bytes/workgroup (compile time only)
; SGPRBlocks: 1
; VGPRBlocks: 0
; NumSGPRsForWavesPerEU: 14
; NumVGPRsForWavesPerEU: 3
; Occupancy: 10
; WaveLimiterHint : 0
; COMPUTE_PGM_RSRC2:SCRATCH_EN: 0
; COMPUTE_PGM_RSRC2:USER_SGPR: 6
; COMPUTE_PGM_RSRC2:TRAP_HANDLER: 0
; COMPUTE_PGM_RSRC2:TGID_X_EN: 1
; COMPUTE_PGM_RSRC2:TGID_Y_EN: 0
; COMPUTE_PGM_RSRC2:TGID_Z_EN: 0
; COMPUTE_PGM_RSRC2:TIDIG_COMP_CNT: 0
	.section	.text._ZN7rocprim17ROCPRIM_304000_NS6detail25onesweep_iteration_kernelINS1_34wrapped_radix_sort_onesweep_configINS0_14default_configEjN2at4cuda3cub6detail10OpaqueTypeILi8EEEEELb1EPKjPjPKSA_PSA_mNS0_19identity_decomposerEEEvT1_T2_T3_T4_jPT5_SO_PNS1_23onesweep_lookback_stateET6_jjj,"axG",@progbits,_ZN7rocprim17ROCPRIM_304000_NS6detail25onesweep_iteration_kernelINS1_34wrapped_radix_sort_onesweep_configINS0_14default_configEjN2at4cuda3cub6detail10OpaqueTypeILi8EEEEELb1EPKjPjPKSA_PSA_mNS0_19identity_decomposerEEEvT1_T2_T3_T4_jPT5_SO_PNS1_23onesweep_lookback_stateET6_jjj,comdat
	.protected	_ZN7rocprim17ROCPRIM_304000_NS6detail25onesweep_iteration_kernelINS1_34wrapped_radix_sort_onesweep_configINS0_14default_configEjN2at4cuda3cub6detail10OpaqueTypeILi8EEEEELb1EPKjPjPKSA_PSA_mNS0_19identity_decomposerEEEvT1_T2_T3_T4_jPT5_SO_PNS1_23onesweep_lookback_stateET6_jjj ; -- Begin function _ZN7rocprim17ROCPRIM_304000_NS6detail25onesweep_iteration_kernelINS1_34wrapped_radix_sort_onesweep_configINS0_14default_configEjN2at4cuda3cub6detail10OpaqueTypeILi8EEEEELb1EPKjPjPKSA_PSA_mNS0_19identity_decomposerEEEvT1_T2_T3_T4_jPT5_SO_PNS1_23onesweep_lookback_stateET6_jjj
	.globl	_ZN7rocprim17ROCPRIM_304000_NS6detail25onesweep_iteration_kernelINS1_34wrapped_radix_sort_onesweep_configINS0_14default_configEjN2at4cuda3cub6detail10OpaqueTypeILi8EEEEELb1EPKjPjPKSA_PSA_mNS0_19identity_decomposerEEEvT1_T2_T3_T4_jPT5_SO_PNS1_23onesweep_lookback_stateET6_jjj
	.p2align	8
	.type	_ZN7rocprim17ROCPRIM_304000_NS6detail25onesweep_iteration_kernelINS1_34wrapped_radix_sort_onesweep_configINS0_14default_configEjN2at4cuda3cub6detail10OpaqueTypeILi8EEEEELb1EPKjPjPKSA_PSA_mNS0_19identity_decomposerEEEvT1_T2_T3_T4_jPT5_SO_PNS1_23onesweep_lookback_stateET6_jjj,@function
_ZN7rocprim17ROCPRIM_304000_NS6detail25onesweep_iteration_kernelINS1_34wrapped_radix_sort_onesweep_configINS0_14default_configEjN2at4cuda3cub6detail10OpaqueTypeILi8EEEEELb1EPKjPjPKSA_PSA_mNS0_19identity_decomposerEEEvT1_T2_T3_T4_jPT5_SO_PNS1_23onesweep_lookback_stateET6_jjj: ; @_ZN7rocprim17ROCPRIM_304000_NS6detail25onesweep_iteration_kernelINS1_34wrapped_radix_sort_onesweep_configINS0_14default_configEjN2at4cuda3cub6detail10OpaqueTypeILi8EEEEELb1EPKjPjPKSA_PSA_mNS0_19identity_decomposerEEEvT1_T2_T3_T4_jPT5_SO_PNS1_23onesweep_lookback_stateET6_jjj
; %bb.0:
	s_load_dwordx8 s[56:63], s[4:5], 0x0
	s_load_dwordx4 s[68:71], s[4:5], 0x44
	s_load_dwordx4 s[64:67], s[4:5], 0x28
	s_load_dwordx2 s[72:73], s[4:5], 0x38
	s_mov_b32 s7, s6
	s_mov_b64 s[0:1], -1
	s_waitcnt lgkmcnt(0)
	s_cmp_ge_u32 s6, s70
	s_mul_i32 s54, s6, 0xc00
	v_mbcnt_lo_u32_b32 v29, -1, 0
	s_cbranch_scc0 .LBB14_152
; %bb.1:
	s_load_dword s2, s[4:5], 0x20
	s_mulk_i32 s70, 0xf400
	s_mov_b32 s55, 0
	s_lshl_b64 s[0:1], s[54:55], 2
	v_mbcnt_hi_u32_b32 v10, -1, v29
	s_waitcnt lgkmcnt(0)
	s_add_i32 s70, s70, s2
	s_add_u32 s0, s56, s0
	s_addc_u32 s1, s57, s1
	v_and_b32_e32 v19, 0xc0, v0
	v_lshlrev_b32_e32 v3, 2, v10
	v_mul_u32_u24_e32 v9, 12, v19
	v_mov_b32_e32 v4, s1
	v_add_co_u32_e32 v3, vcc, s0, v3
	v_addc_co_u32_e32 v4, vcc, 0, v4, vcc
	v_lshlrev_b32_e32 v5, 2, v9
	v_add_co_u32_e32 v3, vcc, v3, v5
	v_addc_co_u32_e32 v4, vcc, 0, v4, vcc
	v_or_b32_e32 v5, v10, v9
	v_mov_b32_e32 v7, -1
	v_cmp_gt_u32_e32 vcc, s70, v5
	v_mov_b32_e32 v8, -1
	s_and_saveexec_b64 s[0:1], vcc
	s_cbranch_execz .LBB14_3
; %bb.2:
	global_load_dword v6, v[3:4], off
	s_waitcnt vmcnt(0)
	v_not_b32_e32 v8, v6
.LBB14_3:
	s_or_b64 exec, exec, s[0:1]
	v_add_u32_e32 v6, 64, v5
	v_cmp_gt_u32_e64 s[0:1], s70, v6
	s_and_saveexec_b64 s[2:3], s[0:1]
	s_cbranch_execz .LBB14_5
; %bb.4:
	global_load_dword v6, v[3:4], off offset:256
	s_waitcnt vmcnt(0)
	v_not_b32_e32 v7, v6
.LBB14_5:
	s_or_b64 exec, exec, s[2:3]
	v_add_u32_e32 v6, 0x80, v5
	v_cmp_gt_u32_e64 s[2:3], s70, v6
	v_mov_b32_e32 v11, -1
	v_mov_b32_e32 v12, -1
	s_and_saveexec_b64 s[8:9], s[2:3]
	s_cbranch_execz .LBB14_7
; %bb.6:
	global_load_dword v6, v[3:4], off offset:512
	s_waitcnt vmcnt(0)
	v_not_b32_e32 v12, v6
.LBB14_7:
	s_or_b64 exec, exec, s[8:9]
	v_add_u32_e32 v6, 0xc0, v5
	v_cmp_gt_u32_e64 s[50:51], s70, v6
	s_and_saveexec_b64 s[8:9], s[50:51]
	s_cbranch_execz .LBB14_9
; %bb.8:
	global_load_dword v6, v[3:4], off offset:768
	s_waitcnt vmcnt(0)
	v_not_b32_e32 v11, v6
.LBB14_9:
	s_or_b64 exec, exec, s[8:9]
	v_add_u32_e32 v6, 0x100, v5
	v_cmp_gt_u32_e64 s[8:9], s70, v6
	v_mov_b32_e32 v13, -1
	v_mov_b32_e32 v14, -1
	s_and_saveexec_b64 s[10:11], s[8:9]
	s_cbranch_execz .LBB14_11
; %bb.10:
	global_load_dword v6, v[3:4], off offset:1024
	s_waitcnt vmcnt(0)
	v_not_b32_e32 v14, v6
.LBB14_11:
	;; [unrolled: 22-line block ×5, first 2 shown]
	s_or_b64 exec, exec, s[14:15]
	v_add_u32_e32 v5, 0x2c0, v5
	v_cmp_gt_u32_e64 s[14:15], s70, v5
	s_and_saveexec_b64 s[24:25], s[14:15]
	s_cbranch_execz .LBB14_25
; %bb.24:
	global_load_dword v3, v[3:4], off offset:2816
	s_waitcnt vmcnt(0)
	v_not_b32_e32 v20, v3
.LBB14_25:
	s_or_b64 exec, exec, s[24:25]
	s_load_dword s24, s[4:5], 0x5c
	s_load_dword s33, s[4:5], 0x50
	s_add_u32 s25, s4, 0x50
	s_addc_u32 s26, s5, 0
	v_mov_b32_e32 v3, 0
	s_waitcnt lgkmcnt(0)
	s_lshr_b32 s27, s24, 16
	s_cmp_lt_u32 s6, s33
	s_cselect_b32 s24, 12, 18
	s_add_u32 s24, s25, s24
	s_addc_u32 s25, s26, 0
	global_load_ushort v5, v3, s[24:25]
	s_lshl_b32 s24, -1, s69
	v_lshrrev_b32_e32 v4, s68, v8
	s_not_b32 s74, s24
	v_and_b32_e32 v23, s74, v4
	v_and_b32_e32 v24, 1, v23
	v_add_co_u32_e64 v26, s[24:25], -1, v24
	v_lshlrev_b32_e32 v4, 30, v23
	v_addc_co_u32_e64 v27, s[24:25], 0, -1, s[24:25]
	v_mad_u32_u24 v6, v2, s27, v1
	v_cmp_ne_u32_e64 s[24:25], 0, v24
	v_cmp_gt_i64_e64 s[26:27], 0, v[3:4]
	v_not_b32_e32 v24, v4
	v_lshlrev_b32_e32 v4, 29, v23
	v_xor_b32_e32 v27, s25, v27
	v_xor_b32_e32 v26, s24, v26
	v_ashrrev_i32_e32 v24, 31, v24
	v_cmp_gt_i64_e64 s[24:25], 0, v[3:4]
	v_not_b32_e32 v28, v4
	v_lshlrev_b32_e32 v4, 28, v23
	v_and_b32_e32 v27, exec_hi, v27
	v_and_b32_e32 v26, exec_lo, v26
	v_xor_b32_e32 v30, s27, v24
	v_xor_b32_e32 v24, s26, v24
	v_ashrrev_i32_e32 v28, 31, v28
	v_cmp_gt_i64_e64 s[26:27], 0, v[3:4]
	v_not_b32_e32 v31, v4
	v_lshlrev_b32_e32 v4, 27, v23
	v_and_b32_e32 v27, v27, v30
	v_and_b32_e32 v24, v26, v24
	v_xor_b32_e32 v26, s25, v28
	v_xor_b32_e32 v28, s24, v28
	v_ashrrev_i32_e32 v30, 31, v31
	v_cmp_gt_i64_e64 s[24:25], 0, v[3:4]
	v_not_b32_e32 v31, v4
	v_lshlrev_b32_e32 v4, 26, v23
	v_and_b32_e32 v26, v27, v26
	v_and_b32_e32 v24, v24, v28
	;; [unrolled: 8-line block ×3, first 2 shown]
	v_xor_b32_e32 v27, s25, v30
	v_xor_b32_e32 v28, s24, v30
	v_ashrrev_i32_e32 v30, 31, v31
	v_cmp_gt_i64_e64 s[24:25], 0, v[3:4]
	v_not_b32_e32 v31, v4
	v_mul_lo_u32 v25, v23, 20
	v_lshlrev_b32_e32 v4, 24, v23
	v_and_b32_e32 v23, v26, v27
	v_and_b32_e32 v24, v24, v28
	v_xor_b32_e32 v26, s27, v30
	v_xor_b32_e32 v27, s26, v30
	v_ashrrev_i32_e32 v28, 31, v31
	v_and_b32_e32 v23, v23, v26
	v_and_b32_e32 v24, v24, v27
	v_xor_b32_e32 v26, s25, v28
	v_xor_b32_e32 v27, s24, v28
	v_cmp_gt_i64_e64 s[26:27], 0, v[3:4]
	v_not_b32_e32 v4, v4
	v_and_b32_e32 v26, v23, v26
	v_and_b32_e32 v27, v24, v27
	v_ashrrev_i32_e32 v4, 31, v4
	v_xor_b32_e32 v28, s27, v4
	v_xor_b32_e32 v4, s26, v4
	v_and_b32_e32 v4, v27, v4
	v_mul_u32_u24_e32 v22, 20, v0
	ds_write2_b32 v22, v3, v3 offset0:4 offset1:5
	ds_write2_b32 v22, v3, v3 offset0:6 offset1:7
	ds_write_b32 v22, v3 offset:32
	s_waitcnt vmcnt(0) lgkmcnt(0)
	s_barrier
	; wave barrier
	v_mad_u64_u32 v[23:24], s[24:25], v6, v5, v[0:1]
	v_and_b32_e32 v5, v26, v28
	v_cmp_ne_u64_e64 s[24:25], 0, v[4:5]
	v_lshrrev_b32_e32 v6, 6, v23
	v_mbcnt_lo_u32_b32 v23, v4, 0
	v_mbcnt_hi_u32_b32 v23, v5, v23
	v_cmp_eq_u32_e64 s[26:27], 0, v23
	v_lshl_add_u32 v24, v6, 2, v25
	s_and_b64 s[26:27], s[24:25], s[26:27]
	s_and_saveexec_b64 s[24:25], s[26:27]
; %bb.26:
	v_bcnt_u32_b32 v4, v4, 0
	v_bcnt_u32_b32 v4, v5, v4
	ds_write_b32 v24, v4 offset:16
; %bb.27:
	s_or_b64 exec, exec, s[24:25]
	v_lshrrev_b32_e32 v4, s68, v7
	v_and_b32_e32 v5, s74, v4
	v_mul_lo_u32 v4, v5, 20
	v_and_b32_e32 v27, 1, v5
	; wave barrier
	v_lshl_add_u32 v26, v6, 2, v4
	v_add_co_u32_e64 v4, s[24:25], -1, v27
	v_addc_co_u32_e64 v28, s[24:25], 0, -1, s[24:25]
	v_cmp_ne_u32_e64 s[24:25], 0, v27
	v_xor_b32_e32 v4, s24, v4
	v_xor_b32_e32 v27, s25, v28
	v_and_b32_e32 v28, exec_lo, v4
	v_lshlrev_b32_e32 v4, 30, v5
	v_cmp_gt_i64_e64 s[24:25], 0, v[3:4]
	v_not_b32_e32 v4, v4
	v_ashrrev_i32_e32 v4, 31, v4
	v_xor_b32_e32 v30, s25, v4
	v_xor_b32_e32 v4, s24, v4
	v_and_b32_e32 v28, v28, v4
	v_lshlrev_b32_e32 v4, 29, v5
	v_cmp_gt_i64_e64 s[24:25], 0, v[3:4]
	v_not_b32_e32 v4, v4
	v_and_b32_e32 v27, exec_hi, v27
	v_ashrrev_i32_e32 v4, 31, v4
	v_and_b32_e32 v27, v27, v30
	v_xor_b32_e32 v30, s25, v4
	v_xor_b32_e32 v4, s24, v4
	v_and_b32_e32 v28, v28, v4
	v_lshlrev_b32_e32 v4, 28, v5
	v_cmp_gt_i64_e64 s[24:25], 0, v[3:4]
	v_not_b32_e32 v4, v4
	v_ashrrev_i32_e32 v4, 31, v4
	v_and_b32_e32 v27, v27, v30
	v_xor_b32_e32 v30, s25, v4
	v_xor_b32_e32 v4, s24, v4
	v_and_b32_e32 v28, v28, v4
	v_lshlrev_b32_e32 v4, 27, v5
	v_cmp_gt_i64_e64 s[24:25], 0, v[3:4]
	v_not_b32_e32 v4, v4
	;; [unrolled: 8-line block ×5, first 2 shown]
	v_ashrrev_i32_e32 v3, 31, v3
	v_xor_b32_e32 v4, s25, v3
	v_xor_b32_e32 v3, s24, v3
	ds_read_b32 v25, v26 offset:16
	v_and_b32_e32 v27, v27, v30
	v_and_b32_e32 v3, v28, v3
	;; [unrolled: 1-line block ×3, first 2 shown]
	v_mbcnt_lo_u32_b32 v5, v3, 0
	v_mbcnt_hi_u32_b32 v27, v4, v5
	v_cmp_ne_u64_e64 s[24:25], 0, v[3:4]
	v_cmp_eq_u32_e64 s[26:27], 0, v27
	s_and_b64 s[26:27], s[24:25], s[26:27]
	; wave barrier
	s_and_saveexec_b64 s[24:25], s[26:27]
	s_cbranch_execz .LBB14_29
; %bb.28:
	v_bcnt_u32_b32 v3, v3, 0
	v_bcnt_u32_b32 v3, v4, v3
	s_waitcnt lgkmcnt(0)
	v_add_u32_e32 v3, v25, v3
	ds_write_b32 v26, v3 offset:16
.LBB14_29:
	s_or_b64 exec, exec, s[24:25]
	v_lshrrev_b32_e32 v3, s68, v12
	v_and_b32_e32 v5, s74, v3
	v_and_b32_e32 v4, 1, v5
	v_mul_lo_u32 v3, v5, 20
	v_add_co_u32_e64 v31, s[24:25], -1, v4
	v_addc_co_u32_e64 v32, s[24:25], 0, -1, s[24:25]
	v_cmp_ne_u32_e64 s[24:25], 0, v4
	v_xor_b32_e32 v4, s25, v32
	v_lshl_add_u32 v30, v6, 2, v3
	v_mov_b32_e32 v3, 0
	v_and_b32_e32 v32, exec_hi, v4
	v_lshlrev_b32_e32 v4, 30, v5
	v_xor_b32_e32 v31, s24, v31
	v_cmp_gt_i64_e64 s[24:25], 0, v[3:4]
	v_not_b32_e32 v4, v4
	v_ashrrev_i32_e32 v4, 31, v4
	v_and_b32_e32 v31, exec_lo, v31
	v_xor_b32_e32 v33, s25, v4
	v_xor_b32_e32 v4, s24, v4
	v_and_b32_e32 v31, v31, v4
	v_lshlrev_b32_e32 v4, 29, v5
	v_cmp_gt_i64_e64 s[24:25], 0, v[3:4]
	v_not_b32_e32 v4, v4
	v_ashrrev_i32_e32 v4, 31, v4
	v_and_b32_e32 v32, v32, v33
	v_xor_b32_e32 v33, s25, v4
	v_xor_b32_e32 v4, s24, v4
	v_and_b32_e32 v31, v31, v4
	v_lshlrev_b32_e32 v4, 28, v5
	v_cmp_gt_i64_e64 s[24:25], 0, v[3:4]
	v_not_b32_e32 v4, v4
	v_ashrrev_i32_e32 v4, 31, v4
	v_and_b32_e32 v32, v32, v33
	;; [unrolled: 8-line block ×5, first 2 shown]
	v_xor_b32_e32 v33, s25, v4
	v_xor_b32_e32 v4, s24, v4
	v_and_b32_e32 v31, v31, v4
	v_lshlrev_b32_e32 v4, 24, v5
	v_cmp_gt_i64_e64 s[24:25], 0, v[3:4]
	v_not_b32_e32 v4, v4
	v_ashrrev_i32_e32 v4, 31, v4
	v_xor_b32_e32 v5, s25, v4
	v_xor_b32_e32 v4, s24, v4
	; wave barrier
	ds_read_b32 v28, v30 offset:16
	v_and_b32_e32 v32, v32, v33
	v_and_b32_e32 v4, v31, v4
	;; [unrolled: 1-line block ×3, first 2 shown]
	v_mbcnt_lo_u32_b32 v31, v4, 0
	v_mbcnt_hi_u32_b32 v31, v5, v31
	v_cmp_ne_u64_e64 s[24:25], 0, v[4:5]
	v_cmp_eq_u32_e64 s[26:27], 0, v31
	s_and_b64 s[26:27], s[24:25], s[26:27]
	; wave barrier
	s_and_saveexec_b64 s[24:25], s[26:27]
	s_cbranch_execz .LBB14_31
; %bb.30:
	v_bcnt_u32_b32 v4, v4, 0
	v_bcnt_u32_b32 v4, v5, v4
	s_waitcnt lgkmcnt(0)
	v_add_u32_e32 v4, v28, v4
	ds_write_b32 v30, v4 offset:16
.LBB14_31:
	s_or_b64 exec, exec, s[24:25]
	v_lshrrev_b32_e32 v4, s68, v11
	v_and_b32_e32 v5, s74, v4
	v_mul_lo_u32 v4, v5, 20
	v_and_b32_e32 v34, 1, v5
	; wave barrier
	v_lshl_add_u32 v33, v6, 2, v4
	v_add_co_u32_e64 v4, s[24:25], -1, v34
	v_addc_co_u32_e64 v35, s[24:25], 0, -1, s[24:25]
	v_cmp_ne_u32_e64 s[24:25], 0, v34
	v_xor_b32_e32 v4, s24, v4
	v_xor_b32_e32 v34, s25, v35
	v_and_b32_e32 v35, exec_lo, v4
	v_lshlrev_b32_e32 v4, 30, v5
	v_cmp_gt_i64_e64 s[24:25], 0, v[3:4]
	v_not_b32_e32 v4, v4
	v_ashrrev_i32_e32 v4, 31, v4
	v_xor_b32_e32 v36, s25, v4
	v_xor_b32_e32 v4, s24, v4
	v_and_b32_e32 v35, v35, v4
	v_lshlrev_b32_e32 v4, 29, v5
	v_cmp_gt_i64_e64 s[24:25], 0, v[3:4]
	v_not_b32_e32 v4, v4
	v_and_b32_e32 v34, exec_hi, v34
	v_ashrrev_i32_e32 v4, 31, v4
	v_and_b32_e32 v34, v34, v36
	v_xor_b32_e32 v36, s25, v4
	v_xor_b32_e32 v4, s24, v4
	v_and_b32_e32 v35, v35, v4
	v_lshlrev_b32_e32 v4, 28, v5
	v_cmp_gt_i64_e64 s[24:25], 0, v[3:4]
	v_not_b32_e32 v4, v4
	v_ashrrev_i32_e32 v4, 31, v4
	v_and_b32_e32 v34, v34, v36
	v_xor_b32_e32 v36, s25, v4
	v_xor_b32_e32 v4, s24, v4
	v_and_b32_e32 v35, v35, v4
	v_lshlrev_b32_e32 v4, 27, v5
	v_cmp_gt_i64_e64 s[24:25], 0, v[3:4]
	v_not_b32_e32 v4, v4
	;; [unrolled: 8-line block ×5, first 2 shown]
	v_ashrrev_i32_e32 v3, 31, v3
	v_xor_b32_e32 v4, s25, v3
	v_xor_b32_e32 v3, s24, v3
	ds_read_b32 v32, v33 offset:16
	v_and_b32_e32 v34, v34, v36
	v_and_b32_e32 v3, v35, v3
	;; [unrolled: 1-line block ×3, first 2 shown]
	v_mbcnt_lo_u32_b32 v5, v3, 0
	v_mbcnt_hi_u32_b32 v34, v4, v5
	v_cmp_ne_u64_e64 s[24:25], 0, v[3:4]
	v_cmp_eq_u32_e64 s[26:27], 0, v34
	s_and_b64 s[26:27], s[24:25], s[26:27]
	; wave barrier
	s_and_saveexec_b64 s[24:25], s[26:27]
	s_cbranch_execz .LBB14_33
; %bb.32:
	v_bcnt_u32_b32 v3, v3, 0
	v_bcnt_u32_b32 v3, v4, v3
	s_waitcnt lgkmcnt(0)
	v_add_u32_e32 v3, v32, v3
	ds_write_b32 v33, v3 offset:16
.LBB14_33:
	s_or_b64 exec, exec, s[24:25]
	v_lshrrev_b32_e32 v3, s68, v14
	v_and_b32_e32 v5, s74, v3
	v_and_b32_e32 v4, 1, v5
	v_mul_lo_u32 v3, v5, 20
	v_add_co_u32_e64 v37, s[24:25], -1, v4
	v_addc_co_u32_e64 v38, s[24:25], 0, -1, s[24:25]
	v_cmp_ne_u32_e64 s[24:25], 0, v4
	v_xor_b32_e32 v4, s25, v38
	v_lshl_add_u32 v36, v6, 2, v3
	v_mov_b32_e32 v3, 0
	v_and_b32_e32 v38, exec_hi, v4
	v_lshlrev_b32_e32 v4, 30, v5
	v_xor_b32_e32 v37, s24, v37
	v_cmp_gt_i64_e64 s[24:25], 0, v[3:4]
	v_not_b32_e32 v4, v4
	v_ashrrev_i32_e32 v4, 31, v4
	v_and_b32_e32 v37, exec_lo, v37
	v_xor_b32_e32 v39, s25, v4
	v_xor_b32_e32 v4, s24, v4
	v_and_b32_e32 v37, v37, v4
	v_lshlrev_b32_e32 v4, 29, v5
	v_cmp_gt_i64_e64 s[24:25], 0, v[3:4]
	v_not_b32_e32 v4, v4
	v_ashrrev_i32_e32 v4, 31, v4
	v_and_b32_e32 v38, v38, v39
	v_xor_b32_e32 v39, s25, v4
	v_xor_b32_e32 v4, s24, v4
	v_and_b32_e32 v37, v37, v4
	v_lshlrev_b32_e32 v4, 28, v5
	v_cmp_gt_i64_e64 s[24:25], 0, v[3:4]
	v_not_b32_e32 v4, v4
	v_ashrrev_i32_e32 v4, 31, v4
	v_and_b32_e32 v38, v38, v39
	;; [unrolled: 8-line block ×5, first 2 shown]
	v_xor_b32_e32 v39, s25, v4
	v_xor_b32_e32 v4, s24, v4
	v_and_b32_e32 v37, v37, v4
	v_lshlrev_b32_e32 v4, 24, v5
	v_cmp_gt_i64_e64 s[24:25], 0, v[3:4]
	v_not_b32_e32 v4, v4
	v_ashrrev_i32_e32 v4, 31, v4
	v_xor_b32_e32 v5, s25, v4
	v_xor_b32_e32 v4, s24, v4
	; wave barrier
	ds_read_b32 v35, v36 offset:16
	v_and_b32_e32 v38, v38, v39
	v_and_b32_e32 v4, v37, v4
	;; [unrolled: 1-line block ×3, first 2 shown]
	v_mbcnt_lo_u32_b32 v37, v4, 0
	v_mbcnt_hi_u32_b32 v37, v5, v37
	v_cmp_ne_u64_e64 s[24:25], 0, v[4:5]
	v_cmp_eq_u32_e64 s[26:27], 0, v37
	s_and_b64 s[26:27], s[24:25], s[26:27]
	; wave barrier
	s_and_saveexec_b64 s[24:25], s[26:27]
	s_cbranch_execz .LBB14_35
; %bb.34:
	v_bcnt_u32_b32 v4, v4, 0
	v_bcnt_u32_b32 v4, v5, v4
	s_waitcnt lgkmcnt(0)
	v_add_u32_e32 v4, v35, v4
	ds_write_b32 v36, v4 offset:16
.LBB14_35:
	s_or_b64 exec, exec, s[24:25]
	v_lshrrev_b32_e32 v4, s68, v13
	v_and_b32_e32 v5, s74, v4
	v_mul_lo_u32 v4, v5, 20
	v_and_b32_e32 v40, 1, v5
	; wave barrier
	v_lshl_add_u32 v39, v6, 2, v4
	v_add_co_u32_e64 v4, s[24:25], -1, v40
	v_addc_co_u32_e64 v41, s[24:25], 0, -1, s[24:25]
	v_cmp_ne_u32_e64 s[24:25], 0, v40
	v_xor_b32_e32 v4, s24, v4
	v_xor_b32_e32 v40, s25, v41
	v_and_b32_e32 v41, exec_lo, v4
	v_lshlrev_b32_e32 v4, 30, v5
	v_cmp_gt_i64_e64 s[24:25], 0, v[3:4]
	v_not_b32_e32 v4, v4
	v_ashrrev_i32_e32 v4, 31, v4
	v_xor_b32_e32 v42, s25, v4
	v_xor_b32_e32 v4, s24, v4
	v_and_b32_e32 v41, v41, v4
	v_lshlrev_b32_e32 v4, 29, v5
	v_cmp_gt_i64_e64 s[24:25], 0, v[3:4]
	v_not_b32_e32 v4, v4
	v_and_b32_e32 v40, exec_hi, v40
	v_ashrrev_i32_e32 v4, 31, v4
	v_and_b32_e32 v40, v40, v42
	v_xor_b32_e32 v42, s25, v4
	v_xor_b32_e32 v4, s24, v4
	v_and_b32_e32 v41, v41, v4
	v_lshlrev_b32_e32 v4, 28, v5
	v_cmp_gt_i64_e64 s[24:25], 0, v[3:4]
	v_not_b32_e32 v4, v4
	v_ashrrev_i32_e32 v4, 31, v4
	v_and_b32_e32 v40, v40, v42
	v_xor_b32_e32 v42, s25, v4
	v_xor_b32_e32 v4, s24, v4
	v_and_b32_e32 v41, v41, v4
	v_lshlrev_b32_e32 v4, 27, v5
	v_cmp_gt_i64_e64 s[24:25], 0, v[3:4]
	v_not_b32_e32 v4, v4
	;; [unrolled: 8-line block ×5, first 2 shown]
	v_ashrrev_i32_e32 v3, 31, v3
	v_xor_b32_e32 v4, s25, v3
	v_xor_b32_e32 v3, s24, v3
	ds_read_b32 v38, v39 offset:16
	v_and_b32_e32 v40, v40, v42
	v_and_b32_e32 v3, v41, v3
	;; [unrolled: 1-line block ×3, first 2 shown]
	v_mbcnt_lo_u32_b32 v5, v3, 0
	v_mbcnt_hi_u32_b32 v45, v4, v5
	v_cmp_ne_u64_e64 s[24:25], 0, v[3:4]
	v_cmp_eq_u32_e64 s[26:27], 0, v45
	s_and_b64 s[26:27], s[24:25], s[26:27]
	; wave barrier
	s_and_saveexec_b64 s[24:25], s[26:27]
	s_cbranch_execz .LBB14_37
; %bb.36:
	v_bcnt_u32_b32 v3, v3, 0
	v_bcnt_u32_b32 v3, v4, v3
	s_waitcnt lgkmcnt(0)
	v_add_u32_e32 v3, v38, v3
	ds_write_b32 v39, v3 offset:16
.LBB14_37:
	s_or_b64 exec, exec, s[24:25]
	v_lshrrev_b32_e32 v3, s68, v16
	v_and_b32_e32 v5, s74, v3
	v_and_b32_e32 v4, 1, v5
	v_mul_lo_u32 v3, v5, 20
	v_add_co_u32_e64 v41, s[24:25], -1, v4
	v_addc_co_u32_e64 v42, s[24:25], 0, -1, s[24:25]
	v_cmp_ne_u32_e64 s[24:25], 0, v4
	v_xor_b32_e32 v4, s25, v42
	v_lshl_add_u32 v40, v6, 2, v3
	v_mov_b32_e32 v3, 0
	v_and_b32_e32 v42, exec_hi, v4
	v_lshlrev_b32_e32 v4, 30, v5
	v_xor_b32_e32 v41, s24, v41
	v_cmp_gt_i64_e64 s[24:25], 0, v[3:4]
	v_not_b32_e32 v4, v4
	v_ashrrev_i32_e32 v4, 31, v4
	v_and_b32_e32 v41, exec_lo, v41
	v_xor_b32_e32 v43, s25, v4
	v_xor_b32_e32 v4, s24, v4
	v_and_b32_e32 v41, v41, v4
	v_lshlrev_b32_e32 v4, 29, v5
	v_cmp_gt_i64_e64 s[24:25], 0, v[3:4]
	v_not_b32_e32 v4, v4
	v_ashrrev_i32_e32 v4, 31, v4
	v_and_b32_e32 v42, v42, v43
	v_xor_b32_e32 v43, s25, v4
	v_xor_b32_e32 v4, s24, v4
	v_and_b32_e32 v41, v41, v4
	v_lshlrev_b32_e32 v4, 28, v5
	v_cmp_gt_i64_e64 s[24:25], 0, v[3:4]
	v_not_b32_e32 v4, v4
	v_ashrrev_i32_e32 v4, 31, v4
	v_and_b32_e32 v42, v42, v43
	;; [unrolled: 8-line block ×5, first 2 shown]
	v_xor_b32_e32 v43, s25, v4
	v_xor_b32_e32 v4, s24, v4
	v_and_b32_e32 v41, v41, v4
	v_lshlrev_b32_e32 v4, 24, v5
	v_cmp_gt_i64_e64 s[24:25], 0, v[3:4]
	v_not_b32_e32 v4, v4
	v_ashrrev_i32_e32 v4, 31, v4
	v_xor_b32_e32 v5, s25, v4
	v_xor_b32_e32 v4, s24, v4
	; wave barrier
	ds_read_b32 v46, v40 offset:16
	v_and_b32_e32 v42, v42, v43
	v_and_b32_e32 v4, v41, v4
	;; [unrolled: 1-line block ×3, first 2 shown]
	v_mbcnt_lo_u32_b32 v41, v4, 0
	v_mbcnt_hi_u32_b32 v47, v5, v41
	v_cmp_ne_u64_e64 s[24:25], 0, v[4:5]
	v_cmp_eq_u32_e64 s[26:27], 0, v47
	s_and_b64 s[26:27], s[24:25], s[26:27]
	; wave barrier
	s_and_saveexec_b64 s[24:25], s[26:27]
	s_cbranch_execz .LBB14_39
; %bb.38:
	v_bcnt_u32_b32 v4, v4, 0
	v_bcnt_u32_b32 v4, v5, v4
	s_waitcnt lgkmcnt(0)
	v_add_u32_e32 v4, v46, v4
	ds_write_b32 v40, v4 offset:16
.LBB14_39:
	s_or_b64 exec, exec, s[24:25]
	v_lshrrev_b32_e32 v4, s68, v15
	v_and_b32_e32 v5, s74, v4
	v_mul_lo_u32 v4, v5, 20
	v_and_b32_e32 v42, 1, v5
	; wave barrier
	v_lshl_add_u32 v41, v6, 2, v4
	v_add_co_u32_e64 v4, s[24:25], -1, v42
	v_addc_co_u32_e64 v43, s[24:25], 0, -1, s[24:25]
	v_cmp_ne_u32_e64 s[24:25], 0, v42
	v_xor_b32_e32 v4, s24, v4
	v_xor_b32_e32 v42, s25, v43
	v_and_b32_e32 v43, exec_lo, v4
	v_lshlrev_b32_e32 v4, 30, v5
	v_cmp_gt_i64_e64 s[24:25], 0, v[3:4]
	v_not_b32_e32 v4, v4
	v_ashrrev_i32_e32 v4, 31, v4
	v_xor_b32_e32 v44, s25, v4
	v_xor_b32_e32 v4, s24, v4
	v_and_b32_e32 v43, v43, v4
	v_lshlrev_b32_e32 v4, 29, v5
	v_cmp_gt_i64_e64 s[24:25], 0, v[3:4]
	v_not_b32_e32 v4, v4
	v_and_b32_e32 v42, exec_hi, v42
	v_ashrrev_i32_e32 v4, 31, v4
	v_and_b32_e32 v42, v42, v44
	v_xor_b32_e32 v44, s25, v4
	v_xor_b32_e32 v4, s24, v4
	v_and_b32_e32 v43, v43, v4
	v_lshlrev_b32_e32 v4, 28, v5
	v_cmp_gt_i64_e64 s[24:25], 0, v[3:4]
	v_not_b32_e32 v4, v4
	v_ashrrev_i32_e32 v4, 31, v4
	v_and_b32_e32 v42, v42, v44
	v_xor_b32_e32 v44, s25, v4
	v_xor_b32_e32 v4, s24, v4
	v_and_b32_e32 v43, v43, v4
	v_lshlrev_b32_e32 v4, 27, v5
	v_cmp_gt_i64_e64 s[24:25], 0, v[3:4]
	v_not_b32_e32 v4, v4
	;; [unrolled: 8-line block ×5, first 2 shown]
	v_ashrrev_i32_e32 v3, 31, v3
	v_xor_b32_e32 v4, s25, v3
	v_xor_b32_e32 v3, s24, v3
	ds_read_b32 v48, v41 offset:16
	v_and_b32_e32 v42, v42, v44
	v_and_b32_e32 v3, v43, v3
	;; [unrolled: 1-line block ×3, first 2 shown]
	v_mbcnt_lo_u32_b32 v5, v3, 0
	v_mbcnt_hi_u32_b32 v49, v4, v5
	v_cmp_ne_u64_e64 s[24:25], 0, v[3:4]
	v_cmp_eq_u32_e64 s[26:27], 0, v49
	s_and_b64 s[26:27], s[24:25], s[26:27]
	; wave barrier
	s_and_saveexec_b64 s[24:25], s[26:27]
	s_cbranch_execz .LBB14_41
; %bb.40:
	v_bcnt_u32_b32 v3, v3, 0
	v_bcnt_u32_b32 v3, v4, v3
	s_waitcnt lgkmcnt(0)
	v_add_u32_e32 v3, v48, v3
	ds_write_b32 v41, v3 offset:16
.LBB14_41:
	s_or_b64 exec, exec, s[24:25]
	v_lshrrev_b32_e32 v3, s68, v18
	v_and_b32_e32 v5, s74, v3
	v_and_b32_e32 v4, 1, v5
	v_mul_lo_u32 v3, v5, 20
	v_add_co_u32_e64 v43, s[24:25], -1, v4
	v_addc_co_u32_e64 v44, s[24:25], 0, -1, s[24:25]
	v_cmp_ne_u32_e64 s[24:25], 0, v4
	v_xor_b32_e32 v4, s25, v44
	v_lshl_add_u32 v42, v6, 2, v3
	v_mov_b32_e32 v3, 0
	v_and_b32_e32 v44, exec_hi, v4
	v_lshlrev_b32_e32 v4, 30, v5
	v_xor_b32_e32 v43, s24, v43
	v_cmp_gt_i64_e64 s[24:25], 0, v[3:4]
	v_not_b32_e32 v4, v4
	v_ashrrev_i32_e32 v4, 31, v4
	v_and_b32_e32 v43, exec_lo, v43
	v_xor_b32_e32 v51, s25, v4
	v_xor_b32_e32 v4, s24, v4
	v_and_b32_e32 v43, v43, v4
	v_lshlrev_b32_e32 v4, 29, v5
	v_cmp_gt_i64_e64 s[24:25], 0, v[3:4]
	v_not_b32_e32 v4, v4
	v_ashrrev_i32_e32 v4, 31, v4
	v_and_b32_e32 v44, v44, v51
	v_xor_b32_e32 v51, s25, v4
	v_xor_b32_e32 v4, s24, v4
	v_and_b32_e32 v43, v43, v4
	v_lshlrev_b32_e32 v4, 28, v5
	v_cmp_gt_i64_e64 s[24:25], 0, v[3:4]
	v_not_b32_e32 v4, v4
	v_ashrrev_i32_e32 v4, 31, v4
	v_and_b32_e32 v44, v44, v51
	;; [unrolled: 8-line block ×5, first 2 shown]
	v_xor_b32_e32 v51, s25, v4
	v_xor_b32_e32 v4, s24, v4
	v_and_b32_e32 v43, v43, v4
	v_lshlrev_b32_e32 v4, 24, v5
	v_cmp_gt_i64_e64 s[24:25], 0, v[3:4]
	v_not_b32_e32 v4, v4
	v_ashrrev_i32_e32 v4, 31, v4
	v_xor_b32_e32 v5, s25, v4
	v_xor_b32_e32 v4, s24, v4
	; wave barrier
	ds_read_b32 v50, v42 offset:16
	v_and_b32_e32 v44, v44, v51
	v_and_b32_e32 v4, v43, v4
	;; [unrolled: 1-line block ×3, first 2 shown]
	v_mbcnt_lo_u32_b32 v43, v4, 0
	v_mbcnt_hi_u32_b32 v51, v5, v43
	v_cmp_ne_u64_e64 s[24:25], 0, v[4:5]
	v_cmp_eq_u32_e64 s[26:27], 0, v51
	s_and_b64 s[26:27], s[24:25], s[26:27]
	; wave barrier
	s_and_saveexec_b64 s[24:25], s[26:27]
	s_cbranch_execz .LBB14_43
; %bb.42:
	v_bcnt_u32_b32 v4, v4, 0
	v_bcnt_u32_b32 v4, v5, v4
	s_waitcnt lgkmcnt(0)
	v_add_u32_e32 v4, v50, v4
	ds_write_b32 v42, v4 offset:16
.LBB14_43:
	s_or_b64 exec, exec, s[24:25]
	v_lshrrev_b32_e32 v4, s68, v17
	v_and_b32_e32 v5, s74, v4
	v_mul_lo_u32 v4, v5, 20
	v_and_b32_e32 v44, 1, v5
	; wave barrier
	v_lshl_add_u32 v43, v6, 2, v4
	v_add_co_u32_e64 v4, s[24:25], -1, v44
	v_addc_co_u32_e64 v53, s[24:25], 0, -1, s[24:25]
	v_cmp_ne_u32_e64 s[24:25], 0, v44
	v_xor_b32_e32 v4, s24, v4
	v_xor_b32_e32 v44, s25, v53
	v_and_b32_e32 v53, exec_lo, v4
	v_lshlrev_b32_e32 v4, 30, v5
	v_cmp_gt_i64_e64 s[24:25], 0, v[3:4]
	v_not_b32_e32 v4, v4
	v_ashrrev_i32_e32 v4, 31, v4
	v_xor_b32_e32 v54, s25, v4
	v_xor_b32_e32 v4, s24, v4
	v_and_b32_e32 v53, v53, v4
	v_lshlrev_b32_e32 v4, 29, v5
	v_cmp_gt_i64_e64 s[24:25], 0, v[3:4]
	v_not_b32_e32 v4, v4
	v_and_b32_e32 v44, exec_hi, v44
	v_ashrrev_i32_e32 v4, 31, v4
	v_and_b32_e32 v44, v44, v54
	v_xor_b32_e32 v54, s25, v4
	v_xor_b32_e32 v4, s24, v4
	v_and_b32_e32 v53, v53, v4
	v_lshlrev_b32_e32 v4, 28, v5
	v_cmp_gt_i64_e64 s[24:25], 0, v[3:4]
	v_not_b32_e32 v4, v4
	v_ashrrev_i32_e32 v4, 31, v4
	v_and_b32_e32 v44, v44, v54
	v_xor_b32_e32 v54, s25, v4
	v_xor_b32_e32 v4, s24, v4
	v_and_b32_e32 v53, v53, v4
	v_lshlrev_b32_e32 v4, 27, v5
	v_cmp_gt_i64_e64 s[24:25], 0, v[3:4]
	v_not_b32_e32 v4, v4
	;; [unrolled: 8-line block ×5, first 2 shown]
	v_ashrrev_i32_e32 v3, 31, v3
	v_xor_b32_e32 v4, s25, v3
	v_xor_b32_e32 v3, s24, v3
	ds_read_b32 v52, v43 offset:16
	v_and_b32_e32 v44, v44, v54
	v_and_b32_e32 v3, v53, v3
	;; [unrolled: 1-line block ×3, first 2 shown]
	v_mbcnt_lo_u32_b32 v5, v3, 0
	v_mbcnt_hi_u32_b32 v53, v4, v5
	v_cmp_ne_u64_e64 s[24:25], 0, v[3:4]
	v_cmp_eq_u32_e64 s[26:27], 0, v53
	s_and_b64 s[26:27], s[24:25], s[26:27]
	; wave barrier
	s_and_saveexec_b64 s[24:25], s[26:27]
	s_cbranch_execz .LBB14_45
; %bb.44:
	v_bcnt_u32_b32 v3, v3, 0
	v_bcnt_u32_b32 v3, v4, v3
	s_waitcnt lgkmcnt(0)
	v_add_u32_e32 v3, v52, v3
	ds_write_b32 v43, v3 offset:16
.LBB14_45:
	s_or_b64 exec, exec, s[24:25]
	v_lshrrev_b32_e32 v3, s68, v21
	v_and_b32_e32 v5, s74, v3
	v_and_b32_e32 v4, 1, v5
	v_mul_lo_u32 v3, v5, 20
	v_add_co_u32_e64 v55, s[24:25], -1, v4
	v_addc_co_u32_e64 v56, s[24:25], 0, -1, s[24:25]
	v_cmp_ne_u32_e64 s[24:25], 0, v4
	v_xor_b32_e32 v4, s25, v56
	v_lshl_add_u32 v44, v6, 2, v3
	v_mov_b32_e32 v3, 0
	v_and_b32_e32 v56, exec_hi, v4
	v_lshlrev_b32_e32 v4, 30, v5
	v_xor_b32_e32 v55, s24, v55
	v_cmp_gt_i64_e64 s[24:25], 0, v[3:4]
	v_not_b32_e32 v4, v4
	v_ashrrev_i32_e32 v4, 31, v4
	v_and_b32_e32 v55, exec_lo, v55
	v_xor_b32_e32 v57, s25, v4
	v_xor_b32_e32 v4, s24, v4
	v_and_b32_e32 v55, v55, v4
	v_lshlrev_b32_e32 v4, 29, v5
	v_cmp_gt_i64_e64 s[24:25], 0, v[3:4]
	v_not_b32_e32 v4, v4
	v_ashrrev_i32_e32 v4, 31, v4
	v_and_b32_e32 v56, v56, v57
	v_xor_b32_e32 v57, s25, v4
	v_xor_b32_e32 v4, s24, v4
	v_and_b32_e32 v55, v55, v4
	v_lshlrev_b32_e32 v4, 28, v5
	v_cmp_gt_i64_e64 s[24:25], 0, v[3:4]
	v_not_b32_e32 v4, v4
	v_ashrrev_i32_e32 v4, 31, v4
	v_and_b32_e32 v56, v56, v57
	;; [unrolled: 8-line block ×5, first 2 shown]
	v_xor_b32_e32 v57, s25, v4
	v_xor_b32_e32 v4, s24, v4
	v_and_b32_e32 v55, v55, v4
	v_lshlrev_b32_e32 v4, 24, v5
	v_cmp_gt_i64_e64 s[24:25], 0, v[3:4]
	v_not_b32_e32 v4, v4
	v_ashrrev_i32_e32 v4, 31, v4
	v_xor_b32_e32 v5, s25, v4
	v_xor_b32_e32 v4, s24, v4
	; wave barrier
	ds_read_b32 v54, v44 offset:16
	v_and_b32_e32 v56, v56, v57
	v_and_b32_e32 v4, v55, v4
	;; [unrolled: 1-line block ×3, first 2 shown]
	v_mbcnt_lo_u32_b32 v55, v4, 0
	v_mbcnt_hi_u32_b32 v55, v5, v55
	v_cmp_ne_u64_e64 s[24:25], 0, v[4:5]
	v_cmp_eq_u32_e64 s[26:27], 0, v55
	s_and_b64 s[26:27], s[24:25], s[26:27]
	; wave barrier
	s_and_saveexec_b64 s[24:25], s[26:27]
	s_cbranch_execz .LBB14_47
; %bb.46:
	v_bcnt_u32_b32 v4, v4, 0
	v_bcnt_u32_b32 v4, v5, v4
	s_waitcnt lgkmcnt(0)
	v_add_u32_e32 v4, v54, v4
	ds_write_b32 v44, v4 offset:16
.LBB14_47:
	s_or_b64 exec, exec, s[24:25]
	v_lshrrev_b32_e32 v4, s68, v20
	v_and_b32_e32 v5, s74, v4
	v_mul_lo_u32 v4, v5, 20
	v_and_b32_e32 v58, 1, v5
	; wave barrier
	v_lshl_add_u32 v57, v6, 2, v4
	v_add_co_u32_e64 v4, s[24:25], -1, v58
	v_addc_co_u32_e64 v6, s[24:25], 0, -1, s[24:25]
	v_cmp_ne_u32_e64 s[24:25], 0, v58
	v_xor_b32_e32 v4, s24, v4
	v_and_b32_e32 v58, exec_lo, v4
	v_lshlrev_b32_e32 v4, 30, v5
	v_xor_b32_e32 v6, s25, v6
	v_cmp_gt_i64_e64 s[24:25], 0, v[3:4]
	v_not_b32_e32 v4, v4
	v_ashrrev_i32_e32 v4, 31, v4
	v_xor_b32_e32 v59, s25, v4
	v_xor_b32_e32 v4, s24, v4
	v_and_b32_e32 v58, v58, v4
	v_lshlrev_b32_e32 v4, 29, v5
	v_cmp_gt_i64_e64 s[24:25], 0, v[3:4]
	v_not_b32_e32 v4, v4
	v_and_b32_e32 v6, exec_hi, v6
	v_ashrrev_i32_e32 v4, 31, v4
	v_and_b32_e32 v6, v6, v59
	v_xor_b32_e32 v59, s25, v4
	v_xor_b32_e32 v4, s24, v4
	v_and_b32_e32 v58, v58, v4
	v_lshlrev_b32_e32 v4, 28, v5
	v_cmp_gt_i64_e64 s[24:25], 0, v[3:4]
	v_not_b32_e32 v4, v4
	v_ashrrev_i32_e32 v4, 31, v4
	v_and_b32_e32 v6, v6, v59
	v_xor_b32_e32 v59, s25, v4
	v_xor_b32_e32 v4, s24, v4
	v_and_b32_e32 v58, v58, v4
	v_lshlrev_b32_e32 v4, 27, v5
	v_cmp_gt_i64_e64 s[24:25], 0, v[3:4]
	v_not_b32_e32 v4, v4
	;; [unrolled: 8-line block ×5, first 2 shown]
	v_ashrrev_i32_e32 v3, 31, v3
	v_xor_b32_e32 v4, s25, v3
	v_xor_b32_e32 v3, s24, v3
	ds_read_b32 v56, v57 offset:16
	v_and_b32_e32 v6, v6, v59
	v_and_b32_e32 v3, v58, v3
	;; [unrolled: 1-line block ×3, first 2 shown]
	v_mbcnt_lo_u32_b32 v5, v3, 0
	v_mbcnt_hi_u32_b32 v58, v4, v5
	v_cmp_ne_u64_e64 s[24:25], 0, v[3:4]
	v_cmp_eq_u32_e64 s[26:27], 0, v58
	s_and_b64 s[26:27], s[24:25], s[26:27]
	; wave barrier
	s_and_saveexec_b64 s[24:25], s[26:27]
	s_cbranch_execz .LBB14_49
; %bb.48:
	v_bcnt_u32_b32 v3, v3, 0
	v_bcnt_u32_b32 v3, v4, v3
	s_waitcnt lgkmcnt(0)
	v_add_u32_e32 v3, v56, v3
	ds_write_b32 v57, v3 offset:16
.LBB14_49:
	s_or_b64 exec, exec, s[24:25]
	; wave barrier
	s_waitcnt lgkmcnt(0)
	s_barrier
	ds_read2_b32 v[5:6], v22 offset0:4 offset1:5
	ds_read2_b32 v[3:4], v22 offset0:6 offset1:7
	ds_read_b32 v59, v22 offset:32
	v_min_u32_e32 v19, 0xc0, v19
	v_or_b32_e32 v19, 63, v19
	s_waitcnt lgkmcnt(1)
	v_add3_u32 v60, v6, v5, v3
	s_waitcnt lgkmcnt(0)
	v_add3_u32 v59, v60, v4, v59
	v_and_b32_e32 v60, 15, v10
	v_cmp_ne_u32_e64 s[24:25], 0, v60
	v_mov_b32_dpp v61, v59 row_shr:1 row_mask:0xf bank_mask:0xf
	v_cndmask_b32_e64 v61, 0, v61, s[24:25]
	v_add_u32_e32 v59, v61, v59
	v_cmp_lt_u32_e64 s[24:25], 1, v60
	s_nop 0
	v_mov_b32_dpp v61, v59 row_shr:2 row_mask:0xf bank_mask:0xf
	v_cndmask_b32_e64 v61, 0, v61, s[24:25]
	v_add_u32_e32 v59, v59, v61
	v_cmp_lt_u32_e64 s[24:25], 3, v60
	s_nop 0
	;; [unrolled: 5-line block ×3, first 2 shown]
	v_mov_b32_dpp v61, v59 row_shr:8 row_mask:0xf bank_mask:0xf
	v_cndmask_b32_e64 v60, 0, v61, s[24:25]
	v_add_u32_e32 v59, v59, v60
	v_bfe_i32 v61, v10, 4, 1
	v_cmp_lt_u32_e64 s[24:25], 31, v10
	v_mov_b32_dpp v60, v59 row_bcast:15 row_mask:0xf bank_mask:0xf
	v_and_b32_e32 v60, v61, v60
	v_add_u32_e32 v59, v59, v60
	s_nop 1
	v_mov_b32_dpp v60, v59 row_bcast:31 row_mask:0xf bank_mask:0xf
	v_cndmask_b32_e64 v60, 0, v60, s[24:25]
	v_add_u32_e32 v59, v59, v60
	v_lshrrev_b32_e32 v60, 6, v0
	v_cmp_eq_u32_e64 s[24:25], v0, v19
	s_and_saveexec_b64 s[26:27], s[24:25]
; %bb.50:
	v_lshlrev_b32_e32 v19, 2, v60
	ds_write_b32 v19, v59
; %bb.51:
	s_or_b64 exec, exec, s[26:27]
	v_cmp_gt_u32_e64 s[24:25], 4, v0
	s_waitcnt lgkmcnt(0)
	s_barrier
	s_and_saveexec_b64 s[26:27], s[24:25]
	s_cbranch_execz .LBB14_53
; %bb.52:
	v_lshlrev_b32_e32 v19, 2, v0
	ds_read_b32 v61, v19
	v_and_b32_e32 v62, 3, v10
	v_cmp_ne_u32_e64 s[24:25], 0, v62
	s_waitcnt lgkmcnt(0)
	v_mov_b32_dpp v63, v61 row_shr:1 row_mask:0xf bank_mask:0xf
	v_cndmask_b32_e64 v63, 0, v63, s[24:25]
	v_add_u32_e32 v61, v63, v61
	v_cmp_lt_u32_e64 s[24:25], 1, v62
	s_nop 0
	v_mov_b32_dpp v63, v61 row_shr:2 row_mask:0xf bank_mask:0xf
	v_cndmask_b32_e64 v62, 0, v63, s[24:25]
	v_add_u32_e32 v61, v61, v62
	ds_write_b32 v19, v61
.LBB14_53:
	s_or_b64 exec, exec, s[26:27]
	v_cmp_lt_u32_e64 s[24:25], 63, v0
	v_mov_b32_e32 v19, 0
	s_waitcnt lgkmcnt(0)
	s_barrier
	s_and_saveexec_b64 s[26:27], s[24:25]
; %bb.54:
	v_lshl_add_u32 v19, v60, 2, -4
	ds_read_b32 v19, v19
; %bb.55:
	s_or_b64 exec, exec, s[26:27]
	v_add_u32_e32 v60, -1, v10
	v_and_b32_e32 v61, 64, v10
	v_cmp_lt_i32_e64 s[24:25], v60, v61
	v_cndmask_b32_e64 v60, v60, v10, s[24:25]
	s_waitcnt lgkmcnt(0)
	v_add_u32_e32 v59, v19, v59
	v_lshlrev_b32_e32 v60, 2, v60
	ds_bpermute_b32 v59, v60, v59
	v_cmp_eq_u32_e64 s[24:25], 0, v10
	s_waitcnt lgkmcnt(0)
	v_cndmask_b32_e64 v19, v59, v19, s[24:25]
	v_cmp_ne_u32_e64 s[24:25], 0, v0
	v_cndmask_b32_e64 v19, 0, v19, s[24:25]
	v_add_u32_e32 v5, v19, v5
	v_add_u32_e32 v6, v5, v6
	;; [unrolled: 1-line block ×4, first 2 shown]
	ds_write2_b32 v22, v19, v5 offset0:4 offset1:5
	ds_write2_b32 v22, v6, v3 offset0:6 offset1:7
	ds_write_b32 v22, v4 offset:32
	s_waitcnt lgkmcnt(0)
	s_barrier
	ds_read_b32 v4, v41 offset:16
	ds_read_b32 v5, v42 offset:16
	;; [unrolled: 1-line block ×13, first 2 shown]
	v_add_u32_e32 v22, 1, v0
	s_movk_i32 s24, 0x100
	v_cmp_ne_u32_e64 s[24:25], s24, v22
	v_mov_b32_e32 v3, 0xc00
	s_and_saveexec_b64 s[26:27], s[24:25]
; %bb.56:
	v_mul_u32_u24_e32 v3, 20, v22
	ds_read_b32 v3, v3 offset:16
; %bb.57:
	s_or_b64 exec, exec, s[26:27]
	s_waitcnt lgkmcnt(7)
	v_add_u32_e32 v44, v24, v23
	s_waitcnt lgkmcnt(6)
	v_add3_u32 v43, v27, v25, v26
	s_waitcnt lgkmcnt(3)
	v_add3_u32 v40, v37, v35, v36
	v_add3_u32 v37, v49, v48, v4
	v_lshlrev_b32_e32 v4, 2, v44
	v_add3_u32 v42, v31, v28, v41
	s_waitcnt lgkmcnt(0)
	s_barrier
	ds_write_b32 v4, v8 offset:2048
	v_lshlrev_b32_e32 v4, 2, v43
	v_add3_u32 v41, v34, v32, v33
	ds_write_b32 v4, v7 offset:2048
	v_lshlrev_b32_e32 v4, 2, v42
	ds_write_b32 v4, v12 offset:2048
	v_lshlrev_b32_e32 v4, 2, v41
	v_add3_u32 v39, v45, v38, v39
	ds_write_b32 v4, v11 offset:2048
	v_lshlrev_b32_e32 v4, 2, v40
	v_add3_u32 v38, v47, v46, v59
	ds_write_b32 v4, v14 offset:2048
	v_lshlrev_b32_e32 v4, 2, v39
	ds_write_b32 v4, v13 offset:2048
	v_lshlrev_b32_e32 v4, 2, v38
	v_add3_u32 v36, v51, v50, v5
	ds_write_b32 v4, v16 offset:2048
	v_lshlrev_b32_e32 v4, 2, v37
	v_add3_u32 v35, v53, v52, v6
	;; [unrolled: 3-line block ×4, first 2 shown]
	ds_write_b32 v4, v17 offset:2048
	v_lshlrev_b32_e32 v4, 2, v34
	ds_write_b32 v4, v21 offset:2048
	v_lshlrev_b32_e32 v4, 2, v33
	ds_write_b32 v4, v20 offset:2048
	v_sub_u32_e32 v31, v3, v30
	v_lshl_or_b32 v3, s6, 8, v0
	v_mov_b32_e32 v4, 0
	v_lshlrev_b64 v[5:6], 2, v[3:4]
	v_mov_b32_e32 v11, s73
	v_add_co_u32_e64 v5, s[24:25], s72, v5
	v_addc_co_u32_e64 v6, s[24:25], v11, v6, s[24:25]
	v_or_b32_e32 v3, 2.0, v31
	s_mov_b64 s[26:27], 0
	s_brev_b32 s34, -4
	s_mov_b32 s35, s7
	v_mov_b32_e32 v12, 0
	s_waitcnt lgkmcnt(0)
	s_barrier
	global_store_dword v[5:6], v3, off
                                        ; implicit-def: $sgpr24_sgpr25
	s_branch .LBB14_60
.LBB14_58:                              ;   in Loop: Header=BB14_60 Depth=1
	s_or_b64 exec, exec, s[30:31]
.LBB14_59:                              ;   in Loop: Header=BB14_60 Depth=1
	s_or_b64 exec, exec, s[28:29]
	v_and_b32_e32 v7, 0x3fffffff, v3
	v_add_u32_e32 v12, v7, v12
	v_cmp_gt_i32_e64 s[24:25], -2.0, v3
	s_and_b64 s[28:29], exec, s[24:25]
	s_or_b64 s[26:27], s[28:29], s[26:27]
	s_andn2_b64 exec, exec, s[26:27]
	s_cbranch_execz .LBB14_65
.LBB14_60:                              ; =>This Loop Header: Depth=1
                                        ;     Child Loop BB14_63 Depth 2
	s_or_b64 s[24:25], s[24:25], exec
	s_cmp_eq_u32 s35, 0
	s_cbranch_scc1 .LBB14_64
; %bb.61:                               ;   in Loop: Header=BB14_60 Depth=1
	s_add_i32 s35, s35, -1
	v_lshl_or_b32 v3, s35, 8, v0
	v_lshlrev_b64 v[7:8], 2, v[3:4]
	v_add_co_u32_e64 v7, s[24:25], s72, v7
	v_addc_co_u32_e64 v8, s[24:25], v11, v8, s[24:25]
	global_load_dword v3, v[7:8], off glc
	s_waitcnt vmcnt(0)
	v_cmp_gt_u32_e64 s[24:25], 2.0, v3
	s_and_saveexec_b64 s[28:29], s[24:25]
	s_cbranch_execz .LBB14_59
; %bb.62:                               ;   in Loop: Header=BB14_60 Depth=1
	s_mov_b64 s[30:31], 0
.LBB14_63:                              ;   Parent Loop BB14_60 Depth=1
                                        ; =>  This Inner Loop Header: Depth=2
	global_load_dword v3, v[7:8], off glc
	s_waitcnt vmcnt(0)
	v_cmp_lt_u32_e64 s[24:25], s34, v3
	s_or_b64 s[30:31], s[24:25], s[30:31]
	s_andn2_b64 exec, exec, s[30:31]
	s_cbranch_execnz .LBB14_63
	s_branch .LBB14_58
.LBB14_64:                              ;   in Loop: Header=BB14_60 Depth=1
                                        ; implicit-def: $sgpr35
	s_and_b64 s[28:29], exec, s[24:25]
	s_or_b64 s[26:27], s[28:29], s[26:27]
	s_andn2_b64 exec, exec, s[26:27]
	s_cbranch_execnz .LBB14_60
.LBB14_65:
	s_or_b64 exec, exec, s[26:27]
	v_add_u32_e32 v3, v12, v31
	v_or_b32_e32 v3, 0x80000000, v3
	v_lshlrev_b32_e32 v32, 3, v0
	global_store_dword v[5:6], v3, off
	global_load_dwordx2 v[3:4], v32, s[64:65]
	v_sub_co_u32_e64 v5, s[24:25], v12, v30
	v_subb_co_u32_e64 v6, s[24:25], 0, 0, s[24:25]
	s_waitcnt vmcnt(0)
	v_add_co_u32_e64 v3, s[24:25], v5, v3
	v_addc_co_u32_e64 v4, s[24:25], v6, v4, s[24:25]
	v_cmp_gt_u32_e64 s[24:25], s70, v0
	ds_write_b64 v32, v[3:4]
	s_waitcnt lgkmcnt(0)
	s_barrier
	s_and_saveexec_b64 s[28:29], s[24:25]
	s_cbranch_execz .LBB14_67
; %bb.66:
	v_lshlrev_b32_e32 v5, 2, v0
	v_sub_u32_e32 v3, v32, v5
	ds_read_b32 v6, v3 offset:2048
	v_mov_b32_e32 v7, s59
	s_waitcnt lgkmcnt(0)
	v_lshrrev_b32_e32 v3, s68, v6
	v_and_b32_e32 v3, s74, v3
	v_lshlrev_b32_e32 v3, 3, v3
	ds_read_b64 v[3:4], v3
	v_not_b32_e32 v6, v6
	s_waitcnt lgkmcnt(0)
	v_lshlrev_b64 v[3:4], 2, v[3:4]
	v_add_co_u32_e64 v3, s[26:27], s58, v3
	v_addc_co_u32_e64 v4, s[26:27], v7, v4, s[26:27]
	v_add_co_u32_e64 v3, s[26:27], v3, v5
	v_addc_co_u32_e64 v4, s[26:27], 0, v4, s[26:27]
	global_store_dword v[3:4], v6, off
.LBB14_67:
	s_or_b64 exec, exec, s[28:29]
	v_or_b32_e32 v3, 0x100, v0
	v_cmp_gt_u32_e64 s[26:27], s70, v3
	s_and_saveexec_b64 s[30:31], s[26:27]
	s_cbranch_execz .LBB14_69
; %bb.68:
	v_lshlrev_b32_e32 v5, 2, v0
	v_sub_u32_e32 v3, v32, v5
	ds_read_b32 v6, v3 offset:3072
	v_mov_b32_e32 v7, s59
	s_waitcnt lgkmcnt(0)
	v_lshrrev_b32_e32 v3, s68, v6
	v_and_b32_e32 v3, s74, v3
	v_lshlrev_b32_e32 v3, 3, v3
	ds_read_b64 v[3:4], v3
	v_not_b32_e32 v6, v6
	s_waitcnt lgkmcnt(0)
	v_lshlrev_b64 v[3:4], 2, v[3:4]
	v_add_co_u32_e64 v3, s[28:29], s58, v3
	v_addc_co_u32_e64 v4, s[28:29], v7, v4, s[28:29]
	v_add_co_u32_e64 v3, s[28:29], v3, v5
	v_addc_co_u32_e64 v4, s[28:29], 0, v4, s[28:29]
	global_store_dword v[3:4], v6, off offset:1024
.LBB14_69:
	s_or_b64 exec, exec, s[30:31]
	v_or_b32_e32 v45, 0x200, v0
	v_cmp_gt_u32_e64 s[28:29], s70, v45
	s_and_saveexec_b64 s[34:35], s[28:29]
	s_cbranch_execz .LBB14_71
; %bb.70:
	v_lshlrev_b32_e32 v5, 2, v0
	v_sub_u32_e32 v3, v32, v5
	ds_read_b32 v6, v3 offset:4096
	v_mov_b32_e32 v7, s59
	s_waitcnt lgkmcnt(0)
	v_lshrrev_b32_e32 v3, s68, v6
	v_and_b32_e32 v3, s74, v3
	v_lshlrev_b32_e32 v3, 3, v3
	ds_read_b64 v[3:4], v3
	v_not_b32_e32 v6, v6
	s_waitcnt lgkmcnt(0)
	v_lshlrev_b64 v[3:4], 2, v[3:4]
	v_add_co_u32_e64 v3, s[30:31], s58, v3
	v_addc_co_u32_e64 v4, s[30:31], v7, v4, s[30:31]
	v_add_co_u32_e64 v3, s[30:31], v3, v5
	v_addc_co_u32_e64 v4, s[30:31], 0, v4, s[30:31]
	global_store_dword v[3:4], v6, off offset:2048
.LBB14_71:
	;; [unrolled: 24-line block ×3, first 2 shown]
	s_or_b64 exec, exec, s[36:37]
	v_or_b32_e32 v47, 0x400, v0
	v_cmp_gt_u32_e64 s[34:35], s70, v47
	s_and_saveexec_b64 s[38:39], s[34:35]
	s_cbranch_execz .LBB14_75
; %bb.74:
	v_lshlrev_b32_e32 v3, 2, v0
	v_sub_u32_e32 v3, v32, v3
	ds_read_b32 v5, v3 offset:6144
	v_mov_b32_e32 v6, s59
	v_lshlrev_b32_e32 v7, 2, v47
	s_waitcnt lgkmcnt(0)
	v_lshrrev_b32_e32 v3, s68, v5
	v_and_b32_e32 v3, s74, v3
	v_lshlrev_b32_e32 v3, 3, v3
	ds_read_b64 v[3:4], v3
	v_not_b32_e32 v5, v5
	s_waitcnt lgkmcnt(0)
	v_lshlrev_b64 v[3:4], 2, v[3:4]
	v_add_co_u32_e64 v3, s[36:37], s58, v3
	v_addc_co_u32_e64 v4, s[36:37], v6, v4, s[36:37]
	v_add_co_u32_e64 v3, s[36:37], v3, v7
	v_addc_co_u32_e64 v4, s[36:37], 0, v4, s[36:37]
	global_store_dword v[3:4], v5, off
.LBB14_75:
	s_or_b64 exec, exec, s[38:39]
	v_or_b32_e32 v48, 0x500, v0
	v_cmp_gt_u32_e64 s[36:37], s70, v48
	s_and_saveexec_b64 s[40:41], s[36:37]
	s_cbranch_execz .LBB14_77
; %bb.76:
	v_lshlrev_b32_e32 v3, 2, v0
	v_sub_u32_e32 v3, v32, v3
	ds_read_b32 v5, v3 offset:7168
	v_mov_b32_e32 v6, s59
	v_lshlrev_b32_e32 v7, 2, v48
	s_waitcnt lgkmcnt(0)
	v_lshrrev_b32_e32 v3, s68, v5
	v_and_b32_e32 v3, s74, v3
	v_lshlrev_b32_e32 v3, 3, v3
	ds_read_b64 v[3:4], v3
	v_not_b32_e32 v5, v5
	s_waitcnt lgkmcnt(0)
	v_lshlrev_b64 v[3:4], 2, v[3:4]
	v_add_co_u32_e64 v3, s[38:39], s58, v3
	v_addc_co_u32_e64 v4, s[38:39], v6, v4, s[38:39]
	v_add_co_u32_e64 v3, s[38:39], v3, v7
	v_addc_co_u32_e64 v4, s[38:39], 0, v4, s[38:39]
	global_store_dword v[3:4], v5, off
.LBB14_77:
	;; [unrolled: 25-line block ×3, first 2 shown]
	s_or_b64 exec, exec, s[42:43]
	v_or_b32_e32 v50, 0x700, v0
	v_cmp_gt_u32_e64 s[40:41], s70, v50
	s_and_saveexec_b64 s[44:45], s[40:41]
	s_cbranch_execz .LBB14_81
; %bb.80:
	v_lshlrev_b32_e32 v3, 2, v0
	ds_read_b32 v5, v3 offset:9216
	v_mov_b32_e32 v6, s59
	v_lshlrev_b32_e32 v7, 2, v50
	s_waitcnt lgkmcnt(0)
	v_lshrrev_b32_e32 v3, s68, v5
	v_and_b32_e32 v3, s74, v3
	v_lshlrev_b32_e32 v3, 3, v3
	ds_read_b64 v[3:4], v3
	v_not_b32_e32 v5, v5
	s_waitcnt lgkmcnt(0)
	v_lshlrev_b64 v[3:4], 2, v[3:4]
	v_add_co_u32_e64 v3, s[42:43], s58, v3
	v_addc_co_u32_e64 v4, s[42:43], v6, v4, s[42:43]
	v_add_co_u32_e64 v3, s[42:43], v3, v7
	v_addc_co_u32_e64 v4, s[42:43], 0, v4, s[42:43]
	global_store_dword v[3:4], v5, off
.LBB14_81:
	s_or_b64 exec, exec, s[44:45]
	v_or_b32_e32 v51, 0x800, v0
	v_cmp_gt_u32_e64 s[42:43], s70, v51
	s_and_saveexec_b64 s[46:47], s[42:43]
	s_cbranch_execz .LBB14_83
; %bb.82:
	v_lshlrev_b32_e32 v3, 2, v0
	ds_read_b32 v5, v3 offset:10240
	v_mov_b32_e32 v6, s59
	v_lshlrev_b32_e32 v7, 2, v51
	s_waitcnt lgkmcnt(0)
	v_lshrrev_b32_e32 v3, s68, v5
	v_and_b32_e32 v3, s74, v3
	v_lshlrev_b32_e32 v3, 3, v3
	ds_read_b64 v[3:4], v3
	v_not_b32_e32 v5, v5
	s_waitcnt lgkmcnt(0)
	v_lshlrev_b64 v[3:4], 2, v[3:4]
	v_add_co_u32_e64 v3, s[44:45], s58, v3
	v_addc_co_u32_e64 v4, s[44:45], v6, v4, s[44:45]
	v_add_co_u32_e64 v3, s[44:45], v3, v7
	v_addc_co_u32_e64 v4, s[44:45], 0, v4, s[44:45]
	global_store_dword v[3:4], v5, off
.LBB14_83:
	;; [unrolled: 24-line block ×5, first 2 shown]
	s_or_b64 exec, exec, s[70:71]
	s_lshl_b64 s[52:53], s[54:55], 3
	s_add_u32 s52, s60, s52
	s_addc_u32 s53, s61, s53
	v_lshlrev_b32_e32 v3, 3, v10
	v_mov_b32_e32 v4, s53
	v_add_co_u32_e64 v3, s[52:53], s52, v3
	v_addc_co_u32_e64 v4, s[52:53], 0, v4, s[52:53]
	v_lshlrev_b32_e32 v5, 3, v9
	v_add_co_u32_e64 v27, s[52:53], v3, v5
	v_addc_co_u32_e64 v28, s[52:53], 0, v4, s[52:53]
                                        ; implicit-def: $vgpr3_vgpr4
	s_and_saveexec_b64 s[52:53], vcc
	s_xor_b64 s[52:53], exec, s[52:53]
	s_cbranch_execz .LBB14_101
; %bb.90:
	global_load_dwordx2 v[3:4], v[27:28], off
	s_or_b64 exec, exec, s[52:53]
                                        ; implicit-def: $vgpr5_vgpr6
	s_and_saveexec_b64 s[52:53], s[0:1]
	s_cbranch_execnz .LBB14_102
.LBB14_91:
	s_or_b64 exec, exec, s[52:53]
                                        ; implicit-def: $vgpr7_vgpr8
	s_and_saveexec_b64 s[0:1], s[2:3]
	s_cbranch_execz .LBB14_103
.LBB14_92:
	global_load_dwordx2 v[7:8], v[27:28], off offset:1024
	s_or_b64 exec, exec, s[0:1]
                                        ; implicit-def: $vgpr9_vgpr10
	s_and_saveexec_b64 s[0:1], s[50:51]
	s_cbranch_execnz .LBB14_104
.LBB14_93:
	s_or_b64 exec, exec, s[0:1]
                                        ; implicit-def: $vgpr11_vgpr12
	s_and_saveexec_b64 s[0:1], s[8:9]
	s_cbranch_execz .LBB14_105
.LBB14_94:
	global_load_dwordx2 v[11:12], v[27:28], off offset:2048
	s_or_b64 exec, exec, s[0:1]
                                        ; implicit-def: $vgpr13_vgpr14
	s_and_saveexec_b64 s[0:1], s[10:11]
	s_cbranch_execnz .LBB14_106
.LBB14_95:
	s_or_b64 exec, exec, s[0:1]
                                        ; implicit-def: $vgpr15_vgpr16
	s_and_saveexec_b64 s[0:1], s[12:13]
	s_cbranch_execz .LBB14_107
.LBB14_96:
	global_load_dwordx2 v[15:16], v[27:28], off offset:3072
	s_or_b64 exec, exec, s[0:1]
                                        ; implicit-def: $vgpr17_vgpr18
	s_and_saveexec_b64 s[0:1], s[18:19]
	s_cbranch_execnz .LBB14_108
.LBB14_97:
	s_or_b64 exec, exec, s[0:1]
                                        ; implicit-def: $vgpr19_vgpr20
	s_and_saveexec_b64 s[0:1], s[22:23]
	s_cbranch_execz .LBB14_109
.LBB14_98:
	v_add_co_u32_e32 v19, vcc, 0x1000, v27
	v_addc_co_u32_e32 v20, vcc, 0, v28, vcc
	global_load_dwordx2 v[19:20], v[19:20], off
	s_or_b64 exec, exec, s[0:1]
                                        ; implicit-def: $vgpr21_vgpr22
	s_and_saveexec_b64 s[0:1], s[20:21]
	s_cbranch_execnz .LBB14_110
.LBB14_99:
	s_or_b64 exec, exec, s[0:1]
                                        ; implicit-def: $vgpr23_vgpr24
	s_and_saveexec_b64 s[0:1], s[16:17]
	s_cbranch_execz .LBB14_111
.LBB14_100:
	v_add_co_u32_e32 v23, vcc, 0x1000, v27
	v_addc_co_u32_e32 v24, vcc, 0, v28, vcc
	global_load_dwordx2 v[23:24], v[23:24], off offset:1024
	s_or_b64 exec, exec, s[0:1]
                                        ; implicit-def: $vgpr25_vgpr26
	s_and_saveexec_b64 s[0:1], s[14:15]
	s_cbranch_execnz .LBB14_112
	s_branch .LBB14_113
.LBB14_101:
	s_or_b64 exec, exec, s[52:53]
                                        ; implicit-def: $vgpr5_vgpr6
	s_and_saveexec_b64 s[52:53], s[0:1]
	s_cbranch_execz .LBB14_91
.LBB14_102:
	global_load_dwordx2 v[5:6], v[27:28], off offset:512
	s_or_b64 exec, exec, s[52:53]
                                        ; implicit-def: $vgpr7_vgpr8
	s_and_saveexec_b64 s[0:1], s[2:3]
	s_cbranch_execnz .LBB14_92
.LBB14_103:
	s_or_b64 exec, exec, s[0:1]
                                        ; implicit-def: $vgpr9_vgpr10
	s_and_saveexec_b64 s[0:1], s[50:51]
	s_cbranch_execz .LBB14_93
.LBB14_104:
	global_load_dwordx2 v[9:10], v[27:28], off offset:1536
	s_or_b64 exec, exec, s[0:1]
                                        ; implicit-def: $vgpr11_vgpr12
	s_and_saveexec_b64 s[0:1], s[8:9]
	s_cbranch_execnz .LBB14_94
.LBB14_105:
	s_or_b64 exec, exec, s[0:1]
                                        ; implicit-def: $vgpr13_vgpr14
	s_and_saveexec_b64 s[0:1], s[10:11]
	s_cbranch_execz .LBB14_95
.LBB14_106:
	global_load_dwordx2 v[13:14], v[27:28], off offset:2560
	s_or_b64 exec, exec, s[0:1]
                                        ; implicit-def: $vgpr15_vgpr16
	s_and_saveexec_b64 s[0:1], s[12:13]
	s_cbranch_execnz .LBB14_96
.LBB14_107:
	s_or_b64 exec, exec, s[0:1]
                                        ; implicit-def: $vgpr17_vgpr18
	s_and_saveexec_b64 s[0:1], s[18:19]
	s_cbranch_execz .LBB14_97
.LBB14_108:
	global_load_dwordx2 v[17:18], v[27:28], off offset:3584
	s_or_b64 exec, exec, s[0:1]
                                        ; implicit-def: $vgpr19_vgpr20
	s_and_saveexec_b64 s[0:1], s[22:23]
	s_cbranch_execnz .LBB14_98
.LBB14_109:
	s_or_b64 exec, exec, s[0:1]
                                        ; implicit-def: $vgpr21_vgpr22
	s_and_saveexec_b64 s[0:1], s[20:21]
	s_cbranch_execz .LBB14_99
.LBB14_110:
	v_add_co_u32_e32 v21, vcc, 0x1000, v27
	v_addc_co_u32_e32 v22, vcc, 0, v28, vcc
	global_load_dwordx2 v[21:22], v[21:22], off offset:512
	s_or_b64 exec, exec, s[0:1]
                                        ; implicit-def: $vgpr23_vgpr24
	s_and_saveexec_b64 s[0:1], s[16:17]
	s_cbranch_execnz .LBB14_100
.LBB14_111:
	s_or_b64 exec, exec, s[0:1]
                                        ; implicit-def: $vgpr25_vgpr26
	s_and_saveexec_b64 s[0:1], s[14:15]
	s_cbranch_execz .LBB14_113
.LBB14_112:
	v_add_co_u32_e32 v25, vcc, 0x1000, v27
	v_addc_co_u32_e32 v26, vcc, 0, v28, vcc
	global_load_dwordx2 v[25:26], v[25:26], off offset:1536
.LBB14_113:
	s_or_b64 exec, exec, s[0:1]
	v_mov_b32_e32 v62, 0
	v_mov_b32_e32 v64, 0
	s_and_saveexec_b64 s[0:1], s[24:25]
	s_cbranch_execz .LBB14_115
; %bb.114:
	v_lshlrev_b32_e32 v27, 2, v0
	ds_read_b32 v27, v27 offset:2048
	s_waitcnt lgkmcnt(0)
	v_lshrrev_b32_e32 v27, s68, v27
	v_and_b32_e32 v64, s74, v27
.LBB14_115:
	s_or_b64 exec, exec, s[0:1]
	s_and_saveexec_b64 s[0:1], s[26:27]
	s_cbranch_execz .LBB14_117
; %bb.116:
	v_lshlrev_b32_e32 v27, 2, v0
	ds_read_b32 v27, v27 offset:3072
	s_waitcnt lgkmcnt(0)
	v_lshrrev_b32_e32 v27, s68, v27
	v_and_b32_e32 v62, s74, v27
.LBB14_117:
	s_or_b64 exec, exec, s[0:1]
	v_mov_b32_e32 v60, 0
	v_mov_b32_e32 v63, 0
	s_and_saveexec_b64 s[0:1], s[28:29]
	s_cbranch_execz .LBB14_119
; %bb.118:
	v_lshlrev_b32_e32 v27, 2, v0
	ds_read_b32 v27, v27 offset:4096
	s_waitcnt lgkmcnt(0)
	v_lshrrev_b32_e32 v27, s68, v27
	v_and_b32_e32 v63, s74, v27
.LBB14_119:
	s_or_b64 exec, exec, s[0:1]
	s_and_saveexec_b64 s[0:1], s[30:31]
	s_cbranch_execz .LBB14_121
; %bb.120:
	v_lshlrev_b32_e32 v27, 2, v0
	ds_read_b32 v27, v27 offset:5120
	s_waitcnt lgkmcnt(0)
	v_lshrrev_b32_e32 v27, s68, v27
	v_and_b32_e32 v60, s74, v27
.LBB14_121:
	;; [unrolled: 22-line block ×6, first 2 shown]
	s_or_b64 exec, exec, s[0:1]
	v_lshlrev_b32_e32 v44, 3, v44
	s_waitcnt vmcnt(0)
	s_barrier
	ds_write_b64 v44, v[3:4] offset:2048
	v_lshlrev_b32_e32 v3, 3, v43
	ds_write_b64 v3, v[5:6] offset:2048
	v_lshlrev_b32_e32 v3, 3, v42
	;; [unrolled: 2-line block ×11, first 2 shown]
	ds_write_b64 v3, v[25:26] offset:2048
	s_waitcnt lgkmcnt(0)
	s_barrier
	s_and_saveexec_b64 s[0:1], s[24:25]
	s_cbranch_execz .LBB14_196
; %bb.138:
	v_lshlrev_b32_e32 v3, 3, v64
	ds_read_b64 v[3:4], v3
	ds_read_b64 v[5:6], v32 offset:2048
	v_mov_b32_e32 v7, s63
	s_waitcnt lgkmcnt(1)
	v_lshlrev_b64 v[3:4], 3, v[3:4]
	v_add_co_u32_e32 v3, vcc, s62, v3
	v_addc_co_u32_e32 v4, vcc, v7, v4, vcc
	v_add_co_u32_e32 v3, vcc, v3, v32
	v_addc_co_u32_e32 v4, vcc, 0, v4, vcc
	s_waitcnt lgkmcnt(0)
	global_store_dwordx2 v[3:4], v[5:6], off
	s_or_b64 exec, exec, s[0:1]
	s_and_saveexec_b64 s[0:1], s[26:27]
	s_cbranch_execnz .LBB14_197
.LBB14_139:
	s_or_b64 exec, exec, s[0:1]
	s_and_saveexec_b64 s[0:1], s[28:29]
	s_cbranch_execz .LBB14_198
.LBB14_140:
	v_lshlrev_b32_e32 v3, 3, v63
	ds_read_b64 v[3:4], v3
	ds_read_b64 v[5:6], v32 offset:6144
	v_mov_b32_e32 v7, s63
	s_waitcnt lgkmcnt(1)
	v_lshlrev_b64 v[3:4], 3, v[3:4]
	v_add_co_u32_e32 v3, vcc, s62, v3
	v_addc_co_u32_e32 v4, vcc, v7, v4, vcc
	v_lshlrev_b32_e32 v7, 3, v45
	v_add_co_u32_e32 v3, vcc, v3, v7
	v_addc_co_u32_e32 v4, vcc, 0, v4, vcc
	s_waitcnt lgkmcnt(0)
	global_store_dwordx2 v[3:4], v[5:6], off
	s_or_b64 exec, exec, s[0:1]
	s_and_saveexec_b64 s[0:1], s[30:31]
	s_cbranch_execnz .LBB14_199
.LBB14_141:
	s_or_b64 exec, exec, s[0:1]
	s_and_saveexec_b64 s[0:1], s[34:35]
	s_cbranch_execz .LBB14_200
.LBB14_142:
	v_lshlrev_b32_e32 v3, 3, v61
	ds_read_b64 v[3:4], v3
	ds_read_b64 v[5:6], v32 offset:10240
	v_mov_b32_e32 v7, s63
	s_waitcnt lgkmcnt(1)
	v_lshlrev_b64 v[3:4], 3, v[3:4]
	v_add_co_u32_e32 v3, vcc, s62, v3
	v_addc_co_u32_e32 v4, vcc, v7, v4, vcc
	v_lshlrev_b32_e32 v7, 3, v47
	v_add_co_u32_e32 v3, vcc, v3, v7
	v_addc_co_u32_e32 v4, vcc, 0, v4, vcc
	s_waitcnt lgkmcnt(0)
	global_store_dwordx2 v[3:4], v[5:6], off
	s_or_b64 exec, exec, s[0:1]
	s_and_saveexec_b64 s[0:1], s[36:37]
	s_cbranch_execnz .LBB14_201
.LBB14_143:
	s_or_b64 exec, exec, s[0:1]
	s_and_saveexec_b64 s[0:1], s[38:39]
	s_cbranch_execz .LBB14_202
.LBB14_144:
	v_lshlrev_b32_e32 v3, 3, v59
	ds_read_b64 v[3:4], v3
	ds_read_b64 v[5:6], v32 offset:14336
	v_mov_b32_e32 v7, s63
	s_waitcnt lgkmcnt(1)
	v_lshlrev_b64 v[3:4], 3, v[3:4]
	v_add_co_u32_e32 v3, vcc, s62, v3
	v_addc_co_u32_e32 v4, vcc, v7, v4, vcc
	v_lshlrev_b32_e32 v7, 3, v49
	v_add_co_u32_e32 v3, vcc, v3, v7
	v_addc_co_u32_e32 v4, vcc, 0, v4, vcc
	s_waitcnt lgkmcnt(0)
	global_store_dwordx2 v[3:4], v[5:6], off
	s_or_b64 exec, exec, s[0:1]
	s_and_saveexec_b64 s[0:1], s[40:41]
	s_cbranch_execnz .LBB14_203
.LBB14_145:
	s_or_b64 exec, exec, s[0:1]
	s_and_saveexec_b64 s[0:1], s[42:43]
	s_cbranch_execz .LBB14_204
.LBB14_146:
	v_lshlrev_b32_e32 v3, 3, v57
	ds_read_b64 v[3:4], v3
	ds_read_b64 v[5:6], v32 offset:18432
	v_mov_b32_e32 v7, s63
	s_waitcnt lgkmcnt(1)
	v_lshlrev_b64 v[3:4], 3, v[3:4]
	v_add_co_u32_e32 v3, vcc, s62, v3
	v_addc_co_u32_e32 v4, vcc, v7, v4, vcc
	v_lshlrev_b32_e32 v7, 3, v51
	v_add_co_u32_e32 v3, vcc, v3, v7
	v_addc_co_u32_e32 v4, vcc, 0, v4, vcc
	s_waitcnt lgkmcnt(0)
	global_store_dwordx2 v[3:4], v[5:6], off
	s_or_b64 exec, exec, s[0:1]
	s_and_saveexec_b64 s[0:1], s[44:45]
	s_cbranch_execnz .LBB14_205
.LBB14_147:
	s_or_b64 exec, exec, s[0:1]
	s_and_saveexec_b64 s[0:1], s[46:47]
	s_cbranch_execz .LBB14_206
.LBB14_148:
	v_lshlrev_b32_e32 v3, 3, v55
	ds_read_b64 v[3:4], v3
	ds_read_b64 v[5:6], v32 offset:22528
	v_mov_b32_e32 v7, s63
	s_waitcnt lgkmcnt(1)
	v_lshlrev_b64 v[3:4], 3, v[3:4]
	v_add_co_u32_e32 v3, vcc, s62, v3
	v_addc_co_u32_e32 v4, vcc, v7, v4, vcc
	v_lshlrev_b32_e32 v7, 3, v53
	v_add_co_u32_e32 v3, vcc, v3, v7
	v_addc_co_u32_e32 v4, vcc, 0, v4, vcc
	s_waitcnt lgkmcnt(0)
	global_store_dwordx2 v[3:4], v[5:6], off
	s_or_b64 exec, exec, s[0:1]
	s_and_saveexec_b64 s[0:1], s[48:49]
	s_cbranch_execnz .LBB14_207
.LBB14_149:
	s_or_b64 exec, exec, s[0:1]
	s_add_i32 s33, s33, -1
	s_cmp_eq_u32 s6, s33
	s_cbranch_scc0 .LBB14_151
.LBB14_150:
	ds_read_b64 v[3:4], v32
	v_add_co_u32_e32 v5, vcc, v31, v30
	v_addc_co_u32_e64 v6, s[0:1], 0, 0, vcc
	s_waitcnt lgkmcnt(0)
	v_add_co_u32_e32 v3, vcc, v5, v3
	v_addc_co_u32_e32 v4, vcc, v6, v4, vcc
	global_store_dwordx2 v32, v[3:4], s[66:67]
.LBB14_151:
	s_mov_b64 s[0:1], 0
.LBB14_152:
	s_and_b64 vcc, exec, s[0:1]
	s_cbranch_vccz .LBB14_195
; %bb.153:
	s_mov_b32 s55, 0
	s_lshl_b64 s[0:1], s[54:55], 2
	v_mbcnt_hi_u32_b32 v8, -1, v29
	s_add_u32 s0, s56, s0
	v_lshlrev_b32_e32 v4, 2, v8
	v_add_co_u32_e32 v4, vcc, s0, v4
	s_load_dword s8, s[4:5], 0x50
	s_load_dword s0, s[4:5], 0x5c
	s_addc_u32 s1, s57, s1
	v_and_b32_e32 v9, 0xc0, v0
	v_mul_u32_u24_e32 v7, 12, v9
	v_mov_b32_e32 v5, s1
	v_addc_co_u32_e32 v5, vcc, 0, v5, vcc
	v_lshlrev_b32_e32 v6, 2, v7
	v_add_co_u32_e32 v4, vcc, v4, v6
	s_add_u32 s1, s4, 0x50
	v_addc_co_u32_e32 v5, vcc, 0, v5, vcc
	s_addc_u32 s2, s5, 0
	s_waitcnt lgkmcnt(0)
	s_lshr_b32 s3, s0, 16
	global_load_dword v10, v[4:5], off
	s_cmp_lt_u32 s6, s8
	s_cselect_b32 s0, 12, 18
	s_add_u32 s0, s1, s0
	v_mov_b32_e32 v3, 0
	s_addc_u32 s1, s2, 0
	global_load_ushort v12, v3, s[0:1]
	v_mul_u32_u24_e32 v6, 20, v0
	ds_write2_b32 v6, v3, v3 offset0:4 offset1:5
	ds_write2_b32 v6, v3, v3 offset0:6 offset1:7
	ds_write_b32 v6, v3 offset:32
	global_load_dword v11, v[4:5], off offset:256
	global_load_dword v15, v[4:5], off offset:512
	;; [unrolled: 1-line block ×11, first 2 shown]
	s_lshl_b32 s0, -1, s69
	v_mad_u32_u24 v1, v2, s3, v1
	s_not_b32 s9, s0
	s_waitcnt vmcnt(0) lgkmcnt(0)
	s_barrier
	; wave barrier
	v_not_b32_e32 v5, v10
	v_lshrrev_b32_e32 v2, s68, v5
	v_and_b32_e32 v13, s9, v2
	v_and_b32_e32 v10, 1, v13
	v_lshlrev_b32_e32 v4, 30, v13
	v_mad_u64_u32 v[1:2], s[0:1], v1, v12, v[0:1]
	v_add_co_u32_e32 v12, vcc, -1, v10
	v_addc_co_u32_e64 v14, s[0:1], 0, -1, vcc
	v_mul_lo_u32 v2, v13, 20
	v_cmp_ne_u32_e32 vcc, 0, v10
	v_cmp_gt_i64_e64 s[0:1], 0, v[3:4]
	v_not_b32_e32 v10, v4
	v_lshlrev_b32_e32 v4, 29, v13
	v_xor_b32_e32 v14, vcc_hi, v14
	v_xor_b32_e32 v12, vcc_lo, v12
	v_ashrrev_i32_e32 v10, 31, v10
	v_cmp_gt_i64_e32 vcc, 0, v[3:4]
	v_not_b32_e32 v16, v4
	v_lshlrev_b32_e32 v4, 28, v13
	v_and_b32_e32 v14, exec_hi, v14
	v_and_b32_e32 v12, exec_lo, v12
	v_xor_b32_e32 v18, s1, v10
	v_xor_b32_e32 v10, s0, v10
	v_ashrrev_i32_e32 v16, 31, v16
	v_cmp_gt_i64_e64 s[0:1], 0, v[3:4]
	v_not_b32_e32 v19, v4
	v_lshlrev_b32_e32 v4, 27, v13
	v_lshrrev_b32_e32 v20, 6, v1
	v_and_b32_e32 v1, v14, v18
	v_and_b32_e32 v12, v12, v10
	v_xor_b32_e32 v14, vcc_hi, v16
	v_xor_b32_e32 v16, vcc_lo, v16
	v_ashrrev_i32_e32 v18, 31, v19
	v_cmp_gt_i64_e32 vcc, 0, v[3:4]
	v_not_b32_e32 v4, v4
	v_lshl_add_u32 v10, v20, 2, v2
	v_and_b32_e32 v1, v1, v14
	v_and_b32_e32 v2, v12, v16
	v_xor_b32_e32 v12, s1, v18
	v_xor_b32_e32 v14, s0, v18
	v_ashrrev_i32_e32 v4, 31, v4
	v_and_b32_e32 v1, v1, v12
	v_and_b32_e32 v2, v2, v14
	v_xor_b32_e32 v12, vcc_hi, v4
	v_xor_b32_e32 v4, vcc_lo, v4
	v_and_b32_e32 v2, v2, v4
	v_lshlrev_b32_e32 v4, 26, v13
	v_cmp_gt_i64_e32 vcc, 0, v[3:4]
	v_not_b32_e32 v4, v4
	v_ashrrev_i32_e32 v4, 31, v4
	v_and_b32_e32 v1, v1, v12
	v_xor_b32_e32 v12, vcc_hi, v4
	v_xor_b32_e32 v4, vcc_lo, v4
	v_and_b32_e32 v2, v2, v4
	v_lshlrev_b32_e32 v4, 25, v13
	v_cmp_gt_i64_e32 vcc, 0, v[3:4]
	v_not_b32_e32 v4, v4
	v_ashrrev_i32_e32 v4, 31, v4
	v_and_b32_e32 v1, v1, v12
	v_xor_b32_e32 v12, vcc_hi, v4
	v_xor_b32_e32 v4, vcc_lo, v4
	v_and_b32_e32 v1, v1, v12
	v_and_b32_e32 v12, v2, v4
	v_lshlrev_b32_e32 v4, 24, v13
	v_cmp_gt_i64_e32 vcc, 0, v[3:4]
	v_not_b32_e32 v2, v4
	v_ashrrev_i32_e32 v2, 31, v2
	v_xor_b32_e32 v4, vcc_hi, v2
	v_xor_b32_e32 v13, vcc_lo, v2
	v_and_b32_e32 v2, v1, v4
	v_and_b32_e32 v1, v12, v13
	v_mbcnt_lo_u32_b32 v4, v1, 0
	v_mbcnt_hi_u32_b32 v12, v2, v4
	v_cmp_ne_u64_e32 vcc, 0, v[1:2]
	v_cmp_eq_u32_e64 s[0:1], 0, v12
	s_and_b64 s[2:3], vcc, s[0:1]
	s_and_saveexec_b64 s[0:1], s[2:3]
; %bb.154:
	v_bcnt_u32_b32 v1, v1, 0
	v_bcnt_u32_b32 v1, v2, v1
	ds_write_b32 v10, v1 offset:16
; %bb.155:
	s_or_b64 exec, exec, s[0:1]
	v_not_b32_e32 v11, v11
	v_lshrrev_b32_e32 v1, s68, v11
	v_and_b32_e32 v1, s9, v1
	v_mul_lo_u32 v2, v1, 20
	v_and_b32_e32 v4, 1, v1
	; wave barrier
	v_lshl_add_u32 v14, v20, 2, v2
	v_add_co_u32_e32 v2, vcc, -1, v4
	v_addc_co_u32_e64 v16, s[0:1], 0, -1, vcc
	v_cmp_ne_u32_e32 vcc, 0, v4
	v_xor_b32_e32 v4, vcc_hi, v16
	v_and_b32_e32 v16, exec_hi, v4
	v_lshlrev_b32_e32 v4, 30, v1
	v_xor_b32_e32 v2, vcc_lo, v2
	v_cmp_gt_i64_e32 vcc, 0, v[3:4]
	v_not_b32_e32 v4, v4
	v_ashrrev_i32_e32 v4, 31, v4
	v_and_b32_e32 v2, exec_lo, v2
	v_xor_b32_e32 v18, vcc_hi, v4
	v_xor_b32_e32 v4, vcc_lo, v4
	v_and_b32_e32 v2, v2, v4
	v_lshlrev_b32_e32 v4, 29, v1
	v_cmp_gt_i64_e32 vcc, 0, v[3:4]
	v_not_b32_e32 v4, v4
	v_ashrrev_i32_e32 v4, 31, v4
	v_and_b32_e32 v16, v16, v18
	v_xor_b32_e32 v18, vcc_hi, v4
	v_xor_b32_e32 v4, vcc_lo, v4
	v_and_b32_e32 v2, v2, v4
	v_lshlrev_b32_e32 v4, 28, v1
	v_cmp_gt_i64_e32 vcc, 0, v[3:4]
	v_not_b32_e32 v4, v4
	v_ashrrev_i32_e32 v4, 31, v4
	v_and_b32_e32 v16, v16, v18
	;; [unrolled: 8-line block ×5, first 2 shown]
	v_xor_b32_e32 v18, vcc_hi, v4
	v_xor_b32_e32 v4, vcc_lo, v4
	v_and_b32_e32 v16, v16, v18
	v_and_b32_e32 v18, v2, v4
	v_lshlrev_b32_e32 v4, 24, v1
	v_cmp_gt_i64_e32 vcc, 0, v[3:4]
	v_not_b32_e32 v1, v4
	v_ashrrev_i32_e32 v1, 31, v1
	v_xor_b32_e32 v2, vcc_hi, v1
	v_xor_b32_e32 v1, vcc_lo, v1
	ds_read_b32 v13, v14 offset:16
	v_and_b32_e32 v1, v18, v1
	v_and_b32_e32 v2, v16, v2
	v_mbcnt_lo_u32_b32 v3, v1, 0
	v_mbcnt_hi_u32_b32 v16, v2, v3
	v_cmp_ne_u64_e32 vcc, 0, v[1:2]
	v_cmp_eq_u32_e64 s[0:1], 0, v16
	s_and_b64 s[2:3], vcc, s[0:1]
	; wave barrier
	s_and_saveexec_b64 s[0:1], s[2:3]
	s_cbranch_execz .LBB14_157
; %bb.156:
	v_bcnt_u32_b32 v1, v1, 0
	v_bcnt_u32_b32 v1, v2, v1
	s_waitcnt lgkmcnt(0)
	v_add_u32_e32 v1, v13, v1
	ds_write_b32 v14, v1 offset:16
.LBB14_157:
	s_or_b64 exec, exec, s[0:1]
	v_not_b32_e32 v15, v15
	v_lshrrev_b32_e32 v1, s68, v15
	v_and_b32_e32 v3, s9, v1
	v_mul_lo_u32 v1, v3, 20
	v_and_b32_e32 v2, 1, v3
	v_add_co_u32_e32 v4, vcc, -1, v2
	v_addc_co_u32_e64 v22, s[0:1], 0, -1, vcc
	v_cmp_ne_u32_e32 vcc, 0, v2
	v_xor_b32_e32 v2, vcc_hi, v22
	v_lshl_add_u32 v19, v20, 2, v1
	v_mov_b32_e32 v1, 0
	v_and_b32_e32 v22, exec_hi, v2
	v_lshlrev_b32_e32 v2, 30, v3
	v_xor_b32_e32 v4, vcc_lo, v4
	v_cmp_gt_i64_e32 vcc, 0, v[1:2]
	v_not_b32_e32 v2, v2
	v_ashrrev_i32_e32 v2, 31, v2
	v_and_b32_e32 v4, exec_lo, v4
	v_xor_b32_e32 v24, vcc_hi, v2
	v_xor_b32_e32 v2, vcc_lo, v2
	v_and_b32_e32 v4, v4, v2
	v_lshlrev_b32_e32 v2, 29, v3
	v_cmp_gt_i64_e32 vcc, 0, v[1:2]
	v_not_b32_e32 v2, v2
	v_ashrrev_i32_e32 v2, 31, v2
	v_and_b32_e32 v22, v22, v24
	v_xor_b32_e32 v24, vcc_hi, v2
	v_xor_b32_e32 v2, vcc_lo, v2
	v_and_b32_e32 v4, v4, v2
	v_lshlrev_b32_e32 v2, 28, v3
	v_cmp_gt_i64_e32 vcc, 0, v[1:2]
	v_not_b32_e32 v2, v2
	v_ashrrev_i32_e32 v2, 31, v2
	v_and_b32_e32 v22, v22, v24
	;; [unrolled: 8-line block ×5, first 2 shown]
	v_xor_b32_e32 v24, vcc_hi, v2
	v_xor_b32_e32 v2, vcc_lo, v2
	v_and_b32_e32 v4, v4, v2
	v_lshlrev_b32_e32 v2, 24, v3
	v_cmp_gt_i64_e32 vcc, 0, v[1:2]
	v_not_b32_e32 v2, v2
	v_ashrrev_i32_e32 v2, 31, v2
	v_xor_b32_e32 v3, vcc_hi, v2
	v_xor_b32_e32 v2, vcc_lo, v2
	; wave barrier
	ds_read_b32 v18, v19 offset:16
	v_and_b32_e32 v22, v22, v24
	v_and_b32_e32 v2, v4, v2
	;; [unrolled: 1-line block ×3, first 2 shown]
	v_mbcnt_lo_u32_b32 v4, v2, 0
	v_mbcnt_hi_u32_b32 v22, v3, v4
	v_cmp_ne_u64_e32 vcc, 0, v[2:3]
	v_cmp_eq_u32_e64 s[0:1], 0, v22
	s_and_b64 s[2:3], vcc, s[0:1]
	; wave barrier
	s_and_saveexec_b64 s[0:1], s[2:3]
	s_cbranch_execz .LBB14_159
; %bb.158:
	v_bcnt_u32_b32 v2, v2, 0
	v_bcnt_u32_b32 v2, v3, v2
	s_waitcnt lgkmcnt(0)
	v_add_u32_e32 v2, v18, v2
	ds_write_b32 v19, v2 offset:16
.LBB14_159:
	s_or_b64 exec, exec, s[0:1]
	v_not_b32_e32 v21, v21
	v_lshrrev_b32_e32 v2, s68, v21
	v_and_b32_e32 v3, s9, v2
	v_mul_lo_u32 v2, v3, 20
	v_and_b32_e32 v4, 1, v3
	; wave barrier
	v_lshl_add_u32 v25, v20, 2, v2
	v_add_co_u32_e32 v2, vcc, -1, v4
	v_addc_co_u32_e64 v27, s[0:1], 0, -1, vcc
	v_cmp_ne_u32_e32 vcc, 0, v4
	v_xor_b32_e32 v2, vcc_lo, v2
	v_xor_b32_e32 v4, vcc_hi, v27
	v_and_b32_e32 v27, exec_lo, v2
	v_lshlrev_b32_e32 v2, 30, v3
	v_cmp_gt_i64_e32 vcc, 0, v[1:2]
	v_not_b32_e32 v2, v2
	v_ashrrev_i32_e32 v2, 31, v2
	v_xor_b32_e32 v29, vcc_hi, v2
	v_xor_b32_e32 v2, vcc_lo, v2
	v_and_b32_e32 v27, v27, v2
	v_lshlrev_b32_e32 v2, 29, v3
	v_cmp_gt_i64_e32 vcc, 0, v[1:2]
	v_not_b32_e32 v2, v2
	v_and_b32_e32 v4, exec_hi, v4
	v_ashrrev_i32_e32 v2, 31, v2
	v_and_b32_e32 v4, v4, v29
	v_xor_b32_e32 v29, vcc_hi, v2
	v_xor_b32_e32 v2, vcc_lo, v2
	v_and_b32_e32 v27, v27, v2
	v_lshlrev_b32_e32 v2, 28, v3
	v_cmp_gt_i64_e32 vcc, 0, v[1:2]
	v_not_b32_e32 v2, v2
	v_ashrrev_i32_e32 v2, 31, v2
	v_and_b32_e32 v4, v4, v29
	v_xor_b32_e32 v29, vcc_hi, v2
	v_xor_b32_e32 v2, vcc_lo, v2
	v_and_b32_e32 v27, v27, v2
	v_lshlrev_b32_e32 v2, 27, v3
	v_cmp_gt_i64_e32 vcc, 0, v[1:2]
	v_not_b32_e32 v2, v2
	;; [unrolled: 8-line block ×5, first 2 shown]
	v_ashrrev_i32_e32 v1, 31, v1
	v_xor_b32_e32 v2, vcc_hi, v1
	v_xor_b32_e32 v1, vcc_lo, v1
	ds_read_b32 v24, v25 offset:16
	v_and_b32_e32 v4, v4, v29
	v_and_b32_e32 v1, v27, v1
	;; [unrolled: 1-line block ×3, first 2 shown]
	v_mbcnt_lo_u32_b32 v3, v1, 0
	v_mbcnt_hi_u32_b32 v27, v2, v3
	v_cmp_ne_u64_e32 vcc, 0, v[1:2]
	v_cmp_eq_u32_e64 s[0:1], 0, v27
	s_and_b64 s[2:3], vcc, s[0:1]
	; wave barrier
	s_and_saveexec_b64 s[0:1], s[2:3]
	s_cbranch_execz .LBB14_161
; %bb.160:
	v_bcnt_u32_b32 v1, v1, 0
	v_bcnt_u32_b32 v1, v2, v1
	s_waitcnt lgkmcnt(0)
	v_add_u32_e32 v1, v24, v1
	ds_write_b32 v25, v1 offset:16
.LBB14_161:
	s_or_b64 exec, exec, s[0:1]
	v_not_b32_e32 v26, v26
	v_lshrrev_b32_e32 v1, s68, v26
	v_and_b32_e32 v3, s9, v1
	v_mul_lo_u32 v1, v3, 20
	v_and_b32_e32 v2, 1, v3
	v_add_co_u32_e32 v4, vcc, -1, v2
	v_addc_co_u32_e64 v32, s[0:1], 0, -1, vcc
	v_cmp_ne_u32_e32 vcc, 0, v2
	v_xor_b32_e32 v2, vcc_hi, v32
	v_lshl_add_u32 v30, v20, 2, v1
	v_mov_b32_e32 v1, 0
	v_and_b32_e32 v32, exec_hi, v2
	v_lshlrev_b32_e32 v2, 30, v3
	v_xor_b32_e32 v4, vcc_lo, v4
	v_cmp_gt_i64_e32 vcc, 0, v[1:2]
	v_not_b32_e32 v2, v2
	v_ashrrev_i32_e32 v2, 31, v2
	v_and_b32_e32 v4, exec_lo, v4
	v_xor_b32_e32 v34, vcc_hi, v2
	v_xor_b32_e32 v2, vcc_lo, v2
	v_and_b32_e32 v4, v4, v2
	v_lshlrev_b32_e32 v2, 29, v3
	v_cmp_gt_i64_e32 vcc, 0, v[1:2]
	v_not_b32_e32 v2, v2
	v_ashrrev_i32_e32 v2, 31, v2
	v_and_b32_e32 v32, v32, v34
	v_xor_b32_e32 v34, vcc_hi, v2
	v_xor_b32_e32 v2, vcc_lo, v2
	v_and_b32_e32 v4, v4, v2
	v_lshlrev_b32_e32 v2, 28, v3
	v_cmp_gt_i64_e32 vcc, 0, v[1:2]
	v_not_b32_e32 v2, v2
	v_ashrrev_i32_e32 v2, 31, v2
	v_and_b32_e32 v32, v32, v34
	;; [unrolled: 8-line block ×5, first 2 shown]
	v_xor_b32_e32 v34, vcc_hi, v2
	v_xor_b32_e32 v2, vcc_lo, v2
	v_and_b32_e32 v4, v4, v2
	v_lshlrev_b32_e32 v2, 24, v3
	v_cmp_gt_i64_e32 vcc, 0, v[1:2]
	v_not_b32_e32 v2, v2
	v_ashrrev_i32_e32 v2, 31, v2
	v_xor_b32_e32 v3, vcc_hi, v2
	v_xor_b32_e32 v2, vcc_lo, v2
	; wave barrier
	ds_read_b32 v29, v30 offset:16
	v_and_b32_e32 v32, v32, v34
	v_and_b32_e32 v2, v4, v2
	;; [unrolled: 1-line block ×3, first 2 shown]
	v_mbcnt_lo_u32_b32 v4, v2, 0
	v_mbcnt_hi_u32_b32 v32, v3, v4
	v_cmp_ne_u64_e32 vcc, 0, v[2:3]
	v_cmp_eq_u32_e64 s[0:1], 0, v32
	s_and_b64 s[2:3], vcc, s[0:1]
	; wave barrier
	s_and_saveexec_b64 s[0:1], s[2:3]
	s_cbranch_execz .LBB14_163
; %bb.162:
	v_bcnt_u32_b32 v2, v2, 0
	v_bcnt_u32_b32 v2, v3, v2
	s_waitcnt lgkmcnt(0)
	v_add_u32_e32 v2, v29, v2
	ds_write_b32 v30, v2 offset:16
.LBB14_163:
	s_or_b64 exec, exec, s[0:1]
	v_not_b32_e32 v31, v31
	v_lshrrev_b32_e32 v2, s68, v31
	v_and_b32_e32 v3, s9, v2
	v_mul_lo_u32 v2, v3, 20
	v_and_b32_e32 v4, 1, v3
	; wave barrier
	v_lshl_add_u32 v35, v20, 2, v2
	v_add_co_u32_e32 v2, vcc, -1, v4
	v_addc_co_u32_e64 v37, s[0:1], 0, -1, vcc
	v_cmp_ne_u32_e32 vcc, 0, v4
	v_xor_b32_e32 v2, vcc_lo, v2
	v_xor_b32_e32 v4, vcc_hi, v37
	v_and_b32_e32 v37, exec_lo, v2
	v_lshlrev_b32_e32 v2, 30, v3
	v_cmp_gt_i64_e32 vcc, 0, v[1:2]
	v_not_b32_e32 v2, v2
	v_ashrrev_i32_e32 v2, 31, v2
	v_xor_b32_e32 v39, vcc_hi, v2
	v_xor_b32_e32 v2, vcc_lo, v2
	v_and_b32_e32 v37, v37, v2
	v_lshlrev_b32_e32 v2, 29, v3
	v_cmp_gt_i64_e32 vcc, 0, v[1:2]
	v_not_b32_e32 v2, v2
	v_and_b32_e32 v4, exec_hi, v4
	v_ashrrev_i32_e32 v2, 31, v2
	v_and_b32_e32 v4, v4, v39
	v_xor_b32_e32 v39, vcc_hi, v2
	v_xor_b32_e32 v2, vcc_lo, v2
	v_and_b32_e32 v37, v37, v2
	v_lshlrev_b32_e32 v2, 28, v3
	v_cmp_gt_i64_e32 vcc, 0, v[1:2]
	v_not_b32_e32 v2, v2
	v_ashrrev_i32_e32 v2, 31, v2
	v_and_b32_e32 v4, v4, v39
	v_xor_b32_e32 v39, vcc_hi, v2
	v_xor_b32_e32 v2, vcc_lo, v2
	v_and_b32_e32 v37, v37, v2
	v_lshlrev_b32_e32 v2, 27, v3
	v_cmp_gt_i64_e32 vcc, 0, v[1:2]
	v_not_b32_e32 v2, v2
	;; [unrolled: 8-line block ×5, first 2 shown]
	v_ashrrev_i32_e32 v1, 31, v1
	v_xor_b32_e32 v2, vcc_hi, v1
	v_xor_b32_e32 v1, vcc_lo, v1
	ds_read_b32 v34, v35 offset:16
	v_and_b32_e32 v4, v4, v39
	v_and_b32_e32 v1, v37, v1
	;; [unrolled: 1-line block ×3, first 2 shown]
	v_mbcnt_lo_u32_b32 v3, v1, 0
	v_mbcnt_hi_u32_b32 v37, v2, v3
	v_cmp_ne_u64_e32 vcc, 0, v[1:2]
	v_cmp_eq_u32_e64 s[0:1], 0, v37
	s_and_b64 s[2:3], vcc, s[0:1]
	; wave barrier
	s_and_saveexec_b64 s[0:1], s[2:3]
	s_cbranch_execz .LBB14_165
; %bb.164:
	v_bcnt_u32_b32 v1, v1, 0
	v_bcnt_u32_b32 v1, v2, v1
	s_waitcnt lgkmcnt(0)
	v_add_u32_e32 v1, v34, v1
	ds_write_b32 v35, v1 offset:16
.LBB14_165:
	s_or_b64 exec, exec, s[0:1]
	v_not_b32_e32 v36, v36
	v_lshrrev_b32_e32 v1, s68, v36
	v_and_b32_e32 v3, s9, v1
	v_mul_lo_u32 v1, v3, 20
	v_and_b32_e32 v2, 1, v3
	v_add_co_u32_e32 v4, vcc, -1, v2
	v_addc_co_u32_e64 v41, s[0:1], 0, -1, vcc
	v_cmp_ne_u32_e32 vcc, 0, v2
	v_xor_b32_e32 v2, vcc_hi, v41
	v_lshl_add_u32 v40, v20, 2, v1
	v_mov_b32_e32 v1, 0
	v_and_b32_e32 v41, exec_hi, v2
	v_lshlrev_b32_e32 v2, 30, v3
	v_xor_b32_e32 v4, vcc_lo, v4
	v_cmp_gt_i64_e32 vcc, 0, v[1:2]
	v_not_b32_e32 v2, v2
	v_ashrrev_i32_e32 v2, 31, v2
	v_and_b32_e32 v4, exec_lo, v4
	v_xor_b32_e32 v42, vcc_hi, v2
	v_xor_b32_e32 v2, vcc_lo, v2
	v_and_b32_e32 v4, v4, v2
	v_lshlrev_b32_e32 v2, 29, v3
	v_cmp_gt_i64_e32 vcc, 0, v[1:2]
	v_not_b32_e32 v2, v2
	v_ashrrev_i32_e32 v2, 31, v2
	v_and_b32_e32 v41, v41, v42
	v_xor_b32_e32 v42, vcc_hi, v2
	v_xor_b32_e32 v2, vcc_lo, v2
	v_and_b32_e32 v4, v4, v2
	v_lshlrev_b32_e32 v2, 28, v3
	v_cmp_gt_i64_e32 vcc, 0, v[1:2]
	v_not_b32_e32 v2, v2
	v_ashrrev_i32_e32 v2, 31, v2
	v_and_b32_e32 v41, v41, v42
	v_xor_b32_e32 v42, vcc_hi, v2
	v_xor_b32_e32 v2, vcc_lo, v2
	v_and_b32_e32 v4, v4, v2
	v_lshlrev_b32_e32 v2, 27, v3
	v_cmp_gt_i64_e32 vcc, 0, v[1:2]
	v_not_b32_e32 v2, v2
	v_ashrrev_i32_e32 v2, 31, v2
	v_and_b32_e32 v41, v41, v42
	v_xor_b32_e32 v42, vcc_hi, v2
	v_xor_b32_e32 v2, vcc_lo, v2
	v_and_b32_e32 v4, v4, v2
	v_lshlrev_b32_e32 v2, 26, v3
	v_cmp_gt_i64_e32 vcc, 0, v[1:2]
	v_not_b32_e32 v2, v2
	v_ashrrev_i32_e32 v2, 31, v2
	v_and_b32_e32 v41, v41, v42
	v_xor_b32_e32 v42, vcc_hi, v2
	v_xor_b32_e32 v2, vcc_lo, v2
	v_and_b32_e32 v4, v4, v2
	v_lshlrev_b32_e32 v2, 25, v3
	v_cmp_gt_i64_e32 vcc, 0, v[1:2]
	v_not_b32_e32 v2, v2
	v_ashrrev_i32_e32 v2, 31, v2
	v_and_b32_e32 v41, v41, v42
	v_xor_b32_e32 v42, vcc_hi, v2
	v_xor_b32_e32 v2, vcc_lo, v2
	v_and_b32_e32 v4, v4, v2
	v_lshlrev_b32_e32 v2, 24, v3
	v_cmp_gt_i64_e32 vcc, 0, v[1:2]
	v_not_b32_e32 v2, v2
	v_ashrrev_i32_e32 v2, 31, v2
	v_xor_b32_e32 v3, vcc_hi, v2
	v_xor_b32_e32 v2, vcc_lo, v2
	; wave barrier
	ds_read_b32 v39, v40 offset:16
	v_and_b32_e32 v41, v41, v42
	v_and_b32_e32 v2, v4, v2
	v_and_b32_e32 v3, v41, v3
	v_mbcnt_lo_u32_b32 v4, v2, 0
	v_mbcnt_hi_u32_b32 v41, v3, v4
	v_cmp_ne_u64_e32 vcc, 0, v[2:3]
	v_cmp_eq_u32_e64 s[0:1], 0, v41
	s_and_b64 s[2:3], vcc, s[0:1]
	; wave barrier
	s_and_saveexec_b64 s[0:1], s[2:3]
	s_cbranch_execz .LBB14_167
; %bb.166:
	v_bcnt_u32_b32 v2, v2, 0
	v_bcnt_u32_b32 v2, v3, v2
	s_waitcnt lgkmcnt(0)
	v_add_u32_e32 v2, v39, v2
	ds_write_b32 v40, v2 offset:16
.LBB14_167:
	s_or_b64 exec, exec, s[0:1]
	v_not_b32_e32 v38, v38
	v_lshrrev_b32_e32 v2, s68, v38
	v_and_b32_e32 v3, s9, v2
	v_mul_lo_u32 v2, v3, 20
	v_and_b32_e32 v4, 1, v3
	; wave barrier
	v_lshl_add_u32 v43, v20, 2, v2
	v_add_co_u32_e32 v2, vcc, -1, v4
	v_addc_co_u32_e64 v44, s[0:1], 0, -1, vcc
	v_cmp_ne_u32_e32 vcc, 0, v4
	v_xor_b32_e32 v2, vcc_lo, v2
	v_xor_b32_e32 v4, vcc_hi, v44
	v_and_b32_e32 v44, exec_lo, v2
	v_lshlrev_b32_e32 v2, 30, v3
	v_cmp_gt_i64_e32 vcc, 0, v[1:2]
	v_not_b32_e32 v2, v2
	v_ashrrev_i32_e32 v2, 31, v2
	v_xor_b32_e32 v45, vcc_hi, v2
	v_xor_b32_e32 v2, vcc_lo, v2
	v_and_b32_e32 v44, v44, v2
	v_lshlrev_b32_e32 v2, 29, v3
	v_cmp_gt_i64_e32 vcc, 0, v[1:2]
	v_not_b32_e32 v2, v2
	v_and_b32_e32 v4, exec_hi, v4
	v_ashrrev_i32_e32 v2, 31, v2
	v_and_b32_e32 v4, v4, v45
	v_xor_b32_e32 v45, vcc_hi, v2
	v_xor_b32_e32 v2, vcc_lo, v2
	v_and_b32_e32 v44, v44, v2
	v_lshlrev_b32_e32 v2, 28, v3
	v_cmp_gt_i64_e32 vcc, 0, v[1:2]
	v_not_b32_e32 v2, v2
	v_ashrrev_i32_e32 v2, 31, v2
	v_and_b32_e32 v4, v4, v45
	v_xor_b32_e32 v45, vcc_hi, v2
	v_xor_b32_e32 v2, vcc_lo, v2
	v_and_b32_e32 v44, v44, v2
	v_lshlrev_b32_e32 v2, 27, v3
	v_cmp_gt_i64_e32 vcc, 0, v[1:2]
	v_not_b32_e32 v2, v2
	;; [unrolled: 8-line block ×5, first 2 shown]
	v_ashrrev_i32_e32 v1, 31, v1
	v_xor_b32_e32 v2, vcc_hi, v1
	v_xor_b32_e32 v1, vcc_lo, v1
	ds_read_b32 v42, v43 offset:16
	v_and_b32_e32 v4, v4, v45
	v_and_b32_e32 v1, v44, v1
	;; [unrolled: 1-line block ×3, first 2 shown]
	v_mbcnt_lo_u32_b32 v3, v1, 0
	v_mbcnt_hi_u32_b32 v44, v2, v3
	v_cmp_ne_u64_e32 vcc, 0, v[1:2]
	v_cmp_eq_u32_e64 s[0:1], 0, v44
	s_and_b64 s[2:3], vcc, s[0:1]
	; wave barrier
	s_and_saveexec_b64 s[0:1], s[2:3]
	s_cbranch_execz .LBB14_169
; %bb.168:
	v_bcnt_u32_b32 v1, v1, 0
	v_bcnt_u32_b32 v1, v2, v1
	s_waitcnt lgkmcnt(0)
	v_add_u32_e32 v1, v42, v1
	ds_write_b32 v43, v1 offset:16
.LBB14_169:
	s_or_b64 exec, exec, s[0:1]
	v_not_b32_e32 v33, v33
	v_lshrrev_b32_e32 v1, s68, v33
	v_and_b32_e32 v3, s9, v1
	v_mul_lo_u32 v1, v3, 20
	v_and_b32_e32 v2, 1, v3
	v_add_co_u32_e32 v4, vcc, -1, v2
	v_addc_co_u32_e64 v47, s[0:1], 0, -1, vcc
	v_cmp_ne_u32_e32 vcc, 0, v2
	v_xor_b32_e32 v2, vcc_hi, v47
	v_lshl_add_u32 v46, v20, 2, v1
	v_mov_b32_e32 v1, 0
	v_and_b32_e32 v47, exec_hi, v2
	v_lshlrev_b32_e32 v2, 30, v3
	v_xor_b32_e32 v4, vcc_lo, v4
	v_cmp_gt_i64_e32 vcc, 0, v[1:2]
	v_not_b32_e32 v2, v2
	v_ashrrev_i32_e32 v2, 31, v2
	v_and_b32_e32 v4, exec_lo, v4
	v_xor_b32_e32 v48, vcc_hi, v2
	v_xor_b32_e32 v2, vcc_lo, v2
	v_and_b32_e32 v4, v4, v2
	v_lshlrev_b32_e32 v2, 29, v3
	v_cmp_gt_i64_e32 vcc, 0, v[1:2]
	v_not_b32_e32 v2, v2
	v_ashrrev_i32_e32 v2, 31, v2
	v_and_b32_e32 v47, v47, v48
	v_xor_b32_e32 v48, vcc_hi, v2
	v_xor_b32_e32 v2, vcc_lo, v2
	v_and_b32_e32 v4, v4, v2
	v_lshlrev_b32_e32 v2, 28, v3
	v_cmp_gt_i64_e32 vcc, 0, v[1:2]
	v_not_b32_e32 v2, v2
	v_ashrrev_i32_e32 v2, 31, v2
	v_and_b32_e32 v47, v47, v48
	;; [unrolled: 8-line block ×5, first 2 shown]
	v_xor_b32_e32 v48, vcc_hi, v2
	v_xor_b32_e32 v2, vcc_lo, v2
	v_and_b32_e32 v4, v4, v2
	v_lshlrev_b32_e32 v2, 24, v3
	v_cmp_gt_i64_e32 vcc, 0, v[1:2]
	v_not_b32_e32 v2, v2
	v_ashrrev_i32_e32 v2, 31, v2
	v_xor_b32_e32 v3, vcc_hi, v2
	v_xor_b32_e32 v2, vcc_lo, v2
	; wave barrier
	ds_read_b32 v45, v46 offset:16
	v_and_b32_e32 v47, v47, v48
	v_and_b32_e32 v2, v4, v2
	;; [unrolled: 1-line block ×3, first 2 shown]
	v_mbcnt_lo_u32_b32 v4, v2, 0
	v_mbcnt_hi_u32_b32 v47, v3, v4
	v_cmp_ne_u64_e32 vcc, 0, v[2:3]
	v_cmp_eq_u32_e64 s[0:1], 0, v47
	s_and_b64 s[2:3], vcc, s[0:1]
	; wave barrier
	s_and_saveexec_b64 s[0:1], s[2:3]
	s_cbranch_execz .LBB14_171
; %bb.170:
	v_bcnt_u32_b32 v2, v2, 0
	v_bcnt_u32_b32 v2, v3, v2
	s_waitcnt lgkmcnt(0)
	v_add_u32_e32 v2, v45, v2
	ds_write_b32 v46, v2 offset:16
.LBB14_171:
	s_or_b64 exec, exec, s[0:1]
	v_not_b32_e32 v28, v28
	v_lshrrev_b32_e32 v2, s68, v28
	v_and_b32_e32 v3, s9, v2
	v_mul_lo_u32 v2, v3, 20
	v_and_b32_e32 v4, 1, v3
	; wave barrier
	v_lshl_add_u32 v49, v20, 2, v2
	v_add_co_u32_e32 v2, vcc, -1, v4
	v_addc_co_u32_e64 v50, s[0:1], 0, -1, vcc
	v_cmp_ne_u32_e32 vcc, 0, v4
	v_xor_b32_e32 v2, vcc_lo, v2
	v_xor_b32_e32 v4, vcc_hi, v50
	v_and_b32_e32 v50, exec_lo, v2
	v_lshlrev_b32_e32 v2, 30, v3
	v_cmp_gt_i64_e32 vcc, 0, v[1:2]
	v_not_b32_e32 v2, v2
	v_ashrrev_i32_e32 v2, 31, v2
	v_xor_b32_e32 v51, vcc_hi, v2
	v_xor_b32_e32 v2, vcc_lo, v2
	v_and_b32_e32 v50, v50, v2
	v_lshlrev_b32_e32 v2, 29, v3
	v_cmp_gt_i64_e32 vcc, 0, v[1:2]
	v_not_b32_e32 v2, v2
	v_and_b32_e32 v4, exec_hi, v4
	v_ashrrev_i32_e32 v2, 31, v2
	v_and_b32_e32 v4, v4, v51
	v_xor_b32_e32 v51, vcc_hi, v2
	v_xor_b32_e32 v2, vcc_lo, v2
	v_and_b32_e32 v50, v50, v2
	v_lshlrev_b32_e32 v2, 28, v3
	v_cmp_gt_i64_e32 vcc, 0, v[1:2]
	v_not_b32_e32 v2, v2
	v_ashrrev_i32_e32 v2, 31, v2
	v_and_b32_e32 v4, v4, v51
	v_xor_b32_e32 v51, vcc_hi, v2
	v_xor_b32_e32 v2, vcc_lo, v2
	v_and_b32_e32 v50, v50, v2
	v_lshlrev_b32_e32 v2, 27, v3
	v_cmp_gt_i64_e32 vcc, 0, v[1:2]
	v_not_b32_e32 v2, v2
	;; [unrolled: 8-line block ×5, first 2 shown]
	v_ashrrev_i32_e32 v1, 31, v1
	v_xor_b32_e32 v2, vcc_hi, v1
	v_xor_b32_e32 v1, vcc_lo, v1
	ds_read_b32 v48, v49 offset:16
	v_and_b32_e32 v4, v4, v51
	v_and_b32_e32 v1, v50, v1
	;; [unrolled: 1-line block ×3, first 2 shown]
	v_mbcnt_lo_u32_b32 v3, v1, 0
	v_mbcnt_hi_u32_b32 v52, v2, v3
	v_cmp_ne_u64_e32 vcc, 0, v[1:2]
	v_cmp_eq_u32_e64 s[0:1], 0, v52
	s_and_b64 s[2:3], vcc, s[0:1]
	; wave barrier
	s_and_saveexec_b64 s[0:1], s[2:3]
	s_cbranch_execz .LBB14_173
; %bb.172:
	v_bcnt_u32_b32 v1, v1, 0
	v_bcnt_u32_b32 v1, v2, v1
	s_waitcnt lgkmcnt(0)
	v_add_u32_e32 v1, v48, v1
	ds_write_b32 v49, v1 offset:16
.LBB14_173:
	s_or_b64 exec, exec, s[0:1]
	v_not_b32_e32 v51, v23
	v_lshrrev_b32_e32 v1, s68, v51
	v_and_b32_e32 v3, s9, v1
	v_mul_lo_u32 v1, v3, 20
	v_and_b32_e32 v2, 1, v3
	v_add_co_u32_e32 v4, vcc, -1, v2
	v_addc_co_u32_e64 v50, s[0:1], 0, -1, vcc
	v_cmp_ne_u32_e32 vcc, 0, v2
	v_xor_b32_e32 v2, vcc_hi, v50
	v_lshl_add_u32 v23, v20, 2, v1
	v_mov_b32_e32 v1, 0
	v_and_b32_e32 v50, exec_hi, v2
	v_lshlrev_b32_e32 v2, 30, v3
	v_xor_b32_e32 v4, vcc_lo, v4
	v_cmp_gt_i64_e32 vcc, 0, v[1:2]
	v_not_b32_e32 v2, v2
	v_ashrrev_i32_e32 v2, 31, v2
	v_and_b32_e32 v4, exec_lo, v4
	v_xor_b32_e32 v54, vcc_hi, v2
	v_xor_b32_e32 v2, vcc_lo, v2
	v_and_b32_e32 v4, v4, v2
	v_lshlrev_b32_e32 v2, 29, v3
	v_cmp_gt_i64_e32 vcc, 0, v[1:2]
	v_not_b32_e32 v2, v2
	v_ashrrev_i32_e32 v2, 31, v2
	v_and_b32_e32 v50, v50, v54
	v_xor_b32_e32 v54, vcc_hi, v2
	v_xor_b32_e32 v2, vcc_lo, v2
	v_and_b32_e32 v4, v4, v2
	v_lshlrev_b32_e32 v2, 28, v3
	v_cmp_gt_i64_e32 vcc, 0, v[1:2]
	v_not_b32_e32 v2, v2
	v_ashrrev_i32_e32 v2, 31, v2
	v_and_b32_e32 v50, v50, v54
	;; [unrolled: 8-line block ×5, first 2 shown]
	v_xor_b32_e32 v54, vcc_hi, v2
	v_xor_b32_e32 v2, vcc_lo, v2
	v_and_b32_e32 v4, v4, v2
	v_lshlrev_b32_e32 v2, 24, v3
	v_cmp_gt_i64_e32 vcc, 0, v[1:2]
	v_not_b32_e32 v2, v2
	v_ashrrev_i32_e32 v2, 31, v2
	v_xor_b32_e32 v3, vcc_hi, v2
	v_xor_b32_e32 v2, vcc_lo, v2
	; wave barrier
	ds_read_b32 v53, v23 offset:16
	v_and_b32_e32 v50, v50, v54
	v_and_b32_e32 v2, v4, v2
	;; [unrolled: 1-line block ×3, first 2 shown]
	v_mbcnt_lo_u32_b32 v4, v2, 0
	v_mbcnt_hi_u32_b32 v55, v3, v4
	v_cmp_ne_u64_e32 vcc, 0, v[2:3]
	v_cmp_eq_u32_e64 s[0:1], 0, v55
	s_and_b64 s[2:3], vcc, s[0:1]
	; wave barrier
	s_and_saveexec_b64 s[0:1], s[2:3]
	s_cbranch_execz .LBB14_175
; %bb.174:
	v_bcnt_u32_b32 v2, v2, 0
	v_bcnt_u32_b32 v2, v3, v2
	s_waitcnt lgkmcnt(0)
	v_add_u32_e32 v2, v53, v2
	ds_write_b32 v23, v2 offset:16
.LBB14_175:
	s_or_b64 exec, exec, s[0:1]
	v_not_b32_e32 v54, v17
	v_lshrrev_b32_e32 v2, s68, v54
	v_and_b32_e32 v3, s9, v2
	v_mul_lo_u32 v2, v3, 20
	v_and_b32_e32 v4, 1, v3
	; wave barrier
	v_lshl_add_u32 v17, v20, 2, v2
	v_add_co_u32_e32 v2, vcc, -1, v4
	v_addc_co_u32_e64 v20, s[0:1], 0, -1, vcc
	v_cmp_ne_u32_e32 vcc, 0, v4
	v_xor_b32_e32 v2, vcc_lo, v2
	v_xor_b32_e32 v4, vcc_hi, v20
	v_and_b32_e32 v20, exec_lo, v2
	v_lshlrev_b32_e32 v2, 30, v3
	v_cmp_gt_i64_e32 vcc, 0, v[1:2]
	v_not_b32_e32 v2, v2
	v_ashrrev_i32_e32 v2, 31, v2
	v_xor_b32_e32 v50, vcc_hi, v2
	v_xor_b32_e32 v2, vcc_lo, v2
	v_and_b32_e32 v20, v20, v2
	v_lshlrev_b32_e32 v2, 29, v3
	v_cmp_gt_i64_e32 vcc, 0, v[1:2]
	v_not_b32_e32 v2, v2
	v_and_b32_e32 v4, exec_hi, v4
	v_ashrrev_i32_e32 v2, 31, v2
	v_and_b32_e32 v4, v4, v50
	v_xor_b32_e32 v50, vcc_hi, v2
	v_xor_b32_e32 v2, vcc_lo, v2
	v_and_b32_e32 v20, v20, v2
	v_lshlrev_b32_e32 v2, 28, v3
	v_cmp_gt_i64_e32 vcc, 0, v[1:2]
	v_not_b32_e32 v2, v2
	v_ashrrev_i32_e32 v2, 31, v2
	v_and_b32_e32 v4, v4, v50
	v_xor_b32_e32 v50, vcc_hi, v2
	v_xor_b32_e32 v2, vcc_lo, v2
	v_and_b32_e32 v20, v20, v2
	v_lshlrev_b32_e32 v2, 27, v3
	v_cmp_gt_i64_e32 vcc, 0, v[1:2]
	v_not_b32_e32 v2, v2
	;; [unrolled: 8-line block ×5, first 2 shown]
	v_ashrrev_i32_e32 v1, 31, v1
	v_xor_b32_e32 v2, vcc_hi, v1
	v_xor_b32_e32 v1, vcc_lo, v1
	ds_read_b32 v56, v17 offset:16
	v_and_b32_e32 v4, v4, v50
	v_and_b32_e32 v1, v20, v1
	;; [unrolled: 1-line block ×3, first 2 shown]
	v_mbcnt_lo_u32_b32 v3, v1, 0
	v_mbcnt_hi_u32_b32 v57, v2, v3
	v_cmp_ne_u64_e32 vcc, 0, v[1:2]
	v_cmp_eq_u32_e64 s[0:1], 0, v57
	s_and_b64 s[2:3], vcc, s[0:1]
	; wave barrier
	s_and_saveexec_b64 s[0:1], s[2:3]
	s_cbranch_execz .LBB14_177
; %bb.176:
	v_bcnt_u32_b32 v1, v1, 0
	v_bcnt_u32_b32 v1, v2, v1
	s_waitcnt lgkmcnt(0)
	v_add_u32_e32 v1, v56, v1
	ds_write_b32 v17, v1 offset:16
.LBB14_177:
	s_or_b64 exec, exec, s[0:1]
	; wave barrier
	s_waitcnt lgkmcnt(0)
	s_barrier
	ds_read2_b32 v[3:4], v6 offset0:4 offset1:5
	ds_read2_b32 v[1:2], v6 offset0:6 offset1:7
	ds_read_b32 v20, v6 offset:32
	v_min_u32_e32 v9, 0xc0, v9
	v_or_b32_e32 v9, 63, v9
	s_waitcnt lgkmcnt(1)
	v_add3_u32 v50, v4, v3, v1
	s_waitcnt lgkmcnt(0)
	v_add3_u32 v20, v50, v2, v20
	v_and_b32_e32 v50, 15, v8
	v_cmp_ne_u32_e32 vcc, 0, v50
	v_mov_b32_dpp v58, v20 row_shr:1 row_mask:0xf bank_mask:0xf
	v_cndmask_b32_e32 v58, 0, v58, vcc
	v_add_u32_e32 v20, v58, v20
	v_cmp_lt_u32_e32 vcc, 1, v50
	s_nop 0
	v_mov_b32_dpp v58, v20 row_shr:2 row_mask:0xf bank_mask:0xf
	v_cndmask_b32_e32 v58, 0, v58, vcc
	v_add_u32_e32 v20, v20, v58
	v_cmp_lt_u32_e32 vcc, 3, v50
	s_nop 0
	;; [unrolled: 5-line block ×3, first 2 shown]
	v_mov_b32_dpp v58, v20 row_shr:8 row_mask:0xf bank_mask:0xf
	v_cndmask_b32_e32 v50, 0, v58, vcc
	v_add_u32_e32 v20, v20, v50
	v_bfe_i32 v58, v8, 4, 1
	v_cmp_lt_u32_e32 vcc, 31, v8
	v_mov_b32_dpp v50, v20 row_bcast:15 row_mask:0xf bank_mask:0xf
	v_and_b32_e32 v50, v58, v50
	v_add_u32_e32 v20, v20, v50
	v_lshrrev_b32_e32 v58, 6, v0
	s_nop 0
	v_mov_b32_dpp v50, v20 row_bcast:31 row_mask:0xf bank_mask:0xf
	v_cndmask_b32_e32 v50, 0, v50, vcc
	v_add_u32_e32 v20, v20, v50
	v_cmp_eq_u32_e32 vcc, v0, v9
	s_and_saveexec_b64 s[0:1], vcc
; %bb.178:
	v_lshlrev_b32_e32 v9, 2, v58
	ds_write_b32 v9, v20
; %bb.179:
	s_or_b64 exec, exec, s[0:1]
	v_cmp_gt_u32_e32 vcc, 4, v0
	v_lshlrev_b32_e32 v50, 2, v0
	s_waitcnt lgkmcnt(0)
	s_barrier
	s_and_saveexec_b64 s[0:1], vcc
	s_cbranch_execz .LBB14_181
; %bb.180:
	ds_read_b32 v9, v50
	v_and_b32_e32 v59, 3, v8
	v_cmp_ne_u32_e32 vcc, 0, v59
	s_waitcnt lgkmcnt(0)
	v_mov_b32_dpp v60, v9 row_shr:1 row_mask:0xf bank_mask:0xf
	v_cndmask_b32_e32 v60, 0, v60, vcc
	v_add_u32_e32 v9, v60, v9
	v_cmp_lt_u32_e32 vcc, 1, v59
	s_nop 0
	v_mov_b32_dpp v60, v9 row_shr:2 row_mask:0xf bank_mask:0xf
	v_cndmask_b32_e32 v59, 0, v60, vcc
	v_add_u32_e32 v9, v9, v59
	ds_write_b32 v50, v9
.LBB14_181:
	s_or_b64 exec, exec, s[0:1]
	v_cmp_lt_u32_e32 vcc, 63, v0
	v_mov_b32_e32 v9, 0
	s_waitcnt lgkmcnt(0)
	s_barrier
	s_and_saveexec_b64 s[0:1], vcc
; %bb.182:
	v_lshl_add_u32 v9, v58, 2, -4
	ds_read_b32 v9, v9
; %bb.183:
	s_or_b64 exec, exec, s[0:1]
	v_add_u32_e32 v58, -1, v8
	v_and_b32_e32 v59, 64, v8
	v_cmp_lt_i32_e32 vcc, v58, v59
	v_cndmask_b32_e32 v58, v58, v8, vcc
	s_waitcnt lgkmcnt(0)
	v_add_u32_e32 v20, v9, v20
	v_lshlrev_b32_e32 v58, 2, v58
	ds_bpermute_b32 v20, v58, v20
	v_cmp_eq_u32_e32 vcc, 0, v8
	s_movk_i32 s0, 0x100
	s_waitcnt lgkmcnt(0)
	v_cndmask_b32_e32 v9, v20, v9, vcc
	v_cmp_ne_u32_e32 vcc, 0, v0
	v_cndmask_b32_e32 v9, 0, v9, vcc
	v_add_u32_e32 v3, v9, v3
	v_add_u32_e32 v4, v3, v4
	;; [unrolled: 1-line block ×4, first 2 shown]
	ds_write2_b32 v6, v9, v3 offset0:4 offset1:5
	ds_write2_b32 v6, v4, v1 offset0:6 offset1:7
	ds_write_b32 v6, v2 offset:32
	s_waitcnt lgkmcnt(0)
	s_barrier
	ds_read_b32 v2, v43 offset:16
	ds_read_b32 v3, v46 offset:16
	;; [unrolled: 1-line block ×13, first 2 shown]
	v_add_u32_e32 v6, 1, v0
	v_cmp_ne_u32_e32 vcc, s0, v6
	v_mov_b32_e32 v1, 0xc00
	s_and_saveexec_b64 s[0:1], vcc
; %bb.184:
	v_mul_u32_u24_e32 v1, 20, v6
	ds_read_b32 v1, v1 offset:16
; %bb.185:
	s_or_b64 exec, exec, s[0:1]
	s_waitcnt lgkmcnt(7)
	v_add_u32_e32 v30, v10, v12
	s_waitcnt lgkmcnt(6)
	v_add3_u32 v25, v16, v13, v14
	s_waitcnt lgkmcnt(5)
	v_add3_u32 v23, v22, v18, v17
	v_add3_u32 v17, v44, v42, v2
	v_lshlrev_b32_e32 v2, 2, v30
	s_waitcnt lgkmcnt(0)
	s_barrier
	ds_write_b32 v2, v5 offset:2048
	v_lshlrev_b32_e32 v2, 2, v25
	v_add3_u32 v22, v27, v24, v19
	ds_write_b32 v2, v11 offset:2048
	v_lshlrev_b32_e32 v2, 2, v23
	v_add3_u32 v20, v32, v29, v20
	;; [unrolled: 3-line block ×4, first 2 shown]
	ds_write_b32 v2, v26 offset:2048
	v_lshlrev_b32_e32 v2, 2, v19
	ds_write_b32 v2, v31 offset:2048
	v_lshlrev_b32_e32 v2, 2, v18
	v_add3_u32 v16, v47, v45, v3
	ds_write_b32 v2, v36 offset:2048
	v_lshlrev_b32_e32 v2, 2, v17
	v_add3_u32 v14, v52, v48, v4
	;; [unrolled: 3-line block ×4, first 2 shown]
	ds_write_b32 v2, v28 offset:2048
	v_lshlrev_b32_e32 v2, 2, v13
	ds_write_b32 v2, v51 offset:2048
	v_lshlrev_b32_e32 v2, 2, v12
	ds_write_b32 v2, v54 offset:2048
	v_sub_u32_e32 v10, v1, v9
	v_lshl_or_b32 v1, s6, 8, v0
	v_mov_b32_e32 v2, 0
	v_lshlrev_b64 v[3:4], 2, v[1:2]
	v_mov_b32_e32 v11, s73
	v_add_co_u32_e32 v3, vcc, s72, v3
	v_addc_co_u32_e32 v4, vcc, v11, v4, vcc
	v_or_b32_e32 v1, 2.0, v10
	s_mov_b64 s[0:1], 0
	s_brev_b32 s10, -4
	v_mov_b32_e32 v15, 0
	s_waitcnt lgkmcnt(0)
	s_barrier
	global_store_dword v[3:4], v1, off
                                        ; implicit-def: $sgpr2_sgpr3
	s_branch .LBB14_188
.LBB14_186:                             ;   in Loop: Header=BB14_188 Depth=1
	s_or_b64 exec, exec, s[4:5]
.LBB14_187:                             ;   in Loop: Header=BB14_188 Depth=1
	s_or_b64 exec, exec, s[2:3]
	v_and_b32_e32 v5, 0x3fffffff, v1
	v_add_u32_e32 v15, v5, v15
	v_cmp_gt_i32_e64 s[2:3], -2.0, v1
	s_and_b64 s[4:5], exec, s[2:3]
	s_or_b64 s[0:1], s[4:5], s[0:1]
	s_andn2_b64 exec, exec, s[0:1]
	s_cbranch_execz .LBB14_193
.LBB14_188:                             ; =>This Loop Header: Depth=1
                                        ;     Child Loop BB14_191 Depth 2
	s_or_b64 s[2:3], s[2:3], exec
	s_cmp_eq_u32 s7, 0
	s_cbranch_scc1 .LBB14_192
; %bb.189:                              ;   in Loop: Header=BB14_188 Depth=1
	s_add_i32 s7, s7, -1
	v_lshl_or_b32 v1, s7, 8, v0
	v_lshlrev_b64 v[5:6], 2, v[1:2]
	v_add_co_u32_e32 v5, vcc, s72, v5
	v_addc_co_u32_e32 v6, vcc, v11, v6, vcc
	global_load_dword v1, v[5:6], off glc
	s_waitcnt vmcnt(0)
	v_cmp_gt_u32_e32 vcc, 2.0, v1
	s_and_saveexec_b64 s[2:3], vcc
	s_cbranch_execz .LBB14_187
; %bb.190:                              ;   in Loop: Header=BB14_188 Depth=1
	s_mov_b64 s[4:5], 0
.LBB14_191:                             ;   Parent Loop BB14_188 Depth=1
                                        ; =>  This Inner Loop Header: Depth=2
	global_load_dword v1, v[5:6], off glc
	s_waitcnt vmcnt(0)
	v_cmp_lt_u32_e32 vcc, s10, v1
	s_or_b64 s[4:5], vcc, s[4:5]
	s_andn2_b64 exec, exec, s[4:5]
	s_cbranch_execnz .LBB14_191
	s_branch .LBB14_186
.LBB14_192:                             ;   in Loop: Header=BB14_188 Depth=1
                                        ; implicit-def: $sgpr7
	s_and_b64 s[4:5], exec, s[2:3]
	s_or_b64 s[0:1], s[4:5], s[0:1]
	s_andn2_b64 exec, exec, s[0:1]
	s_cbranch_execnz .LBB14_188
.LBB14_193:
	s_or_b64 exec, exec, s[0:1]
	v_add_u32_e32 v2, v15, v10
	v_or_b32_e32 v2, 0x80000000, v2
	v_lshlrev_b32_e32 v1, 3, v0
	global_store_dword v[3:4], v2, off
	global_load_dwordx2 v[2:3], v1, s[64:65]
	v_sub_co_u32_e32 v4, vcc, v15, v9
	v_subb_co_u32_e64 v5, s[0:1], 0, 0, vcc
	v_sub_u32_e32 v24, v1, v50
	v_mov_b32_e32 v6, s59
	v_mov_b32_e32 v11, s59
	;; [unrolled: 1-line block ×4, first 2 shown]
	v_or_b32_e32 v57, 0x400, v0
	v_or_b32_e32 v66, 0x600, v0
	v_or_b32_e32 v67, 0x700, v0
	s_lshl_b64 s[0:1], s[54:55], 3
	s_add_u32 s0, s60, s0
	s_addc_u32 s1, s61, s1
	v_lshlrev_b32_e32 v7, 3, v7
	v_or_b32_e32 v68, 0x800, v0
	s_add_i32 s8, s8, -1
	s_cmp_lg_u32 s6, s8
	s_waitcnt vmcnt(0)
	v_add_co_u32_e32 v2, vcc, v4, v2
	v_addc_co_u32_e32 v3, vcc, v5, v3, vcc
	ds_write_b64 v1, v[2:3]
	s_waitcnt lgkmcnt(0)
	s_barrier
	ds_read2st64_b32 v[2:3], v24 offset0:8 offset1:12
	ds_read2st64_b32 v[4:5], v24 offset0:16 offset1:20
	ds_read2st64_b32 v[26:27], v24 offset0:24 offset1:28
	ds_read2st64_b32 v[28:29], v24 offset0:32 offset1:36
	s_waitcnt lgkmcnt(2)
	v_not_b32_e32 v39, v4
	v_lshrrev_b32_e32 v31, s68, v2
	v_not_b32_e32 v37, v2
	v_lshrrev_b32_e32 v2, s68, v3
	;; [unrolled: 2-line block ×3, first 2 shown]
	v_lshrrev_b32_e32 v4, s68, v5
	v_not_b32_e32 v40, v5
	s_waitcnt lgkmcnt(1)
	v_lshrrev_b32_e32 v5, s68, v26
	v_lshrrev_b32_e32 v32, s68, v27
	s_waitcnt lgkmcnt(0)
	v_lshrrev_b32_e32 v33, s68, v28
	v_lshrrev_b32_e32 v34, s68, v29
	v_and_b32_e32 v31, s9, v31
	v_and_b32_e32 v2, s9, v2
	;; [unrolled: 1-line block ×8, first 2 shown]
	v_lshlrev_b32_e32 v58, 3, v31
	v_lshlrev_b32_e32 v59, 3, v2
	;; [unrolled: 1-line block ×8, first 2 shown]
	ds_read_b64 v[2:3], v58
	ds_read_b64 v[4:5], v59
	;; [unrolled: 1-line block ×5, first 2 shown]
	s_waitcnt lgkmcnt(4)
	v_lshlrev_b64 v[2:3], 2, v[2:3]
	s_waitcnt lgkmcnt(3)
	v_lshlrev_b64 v[4:5], 2, v[4:5]
	v_add_co_u32_e32 v2, vcc, s58, v2
	v_addc_co_u32_e32 v3, vcc, v6, v3, vcc
	s_waitcnt lgkmcnt(2)
	v_lshlrev_b64 v[31:32], 2, v[31:32]
	v_add_co_u32_e32 v4, vcc, s58, v4
	v_addc_co_u32_e32 v5, vcc, v11, v5, vcc
	;; [unrolled: 4-line block ×3, first 2 shown]
	v_add_co_u32_e32 v15, vcc, s58, v33
	v_addc_co_u32_e32 v21, vcc, v21, v34, vcc
	v_add_co_u32_e32 v2, vcc, v2, v50
	v_addc_co_u32_e32 v3, vcc, 0, v3, vcc
	;; [unrolled: 2-line block ×5, first 2 shown]
	global_store_dword v[2:3], v37, off
	global_store_dword v[4:5], v38, off offset:1024
	global_store_dword v[31:32], v39, off offset:2048
	;; [unrolled: 1-line block ×3, first 2 shown]
	s_waitcnt lgkmcnt(0)
	v_lshlrev_b64 v[33:34], 2, v[35:36]
	ds_read_b64 v[2:3], v63
	ds_read_b64 v[4:5], v64
	;; [unrolled: 1-line block ×3, first 2 shown]
	v_mov_b32_e32 v6, s59
	v_add_co_u32_e32 v11, vcc, s58, v33
	v_addc_co_u32_e32 v6, vcc, v6, v34, vcc
	v_lshlrev_b32_e32 v15, 2, v57
	v_add_co_u32_e32 v33, vcc, v11, v15
	s_waitcnt lgkmcnt(2)
	v_lshlrev_b64 v[2:3], 2, v[2:3]
	v_addc_co_u32_e32 v34, vcc, 0, v6, vcc
	v_or_b32_e32 v21, 0x500, v0
	v_mov_b32_e32 v11, s59
	v_add_co_u32_e32 v2, vcc, s58, v2
	v_addc_co_u32_e32 v3, vcc, v11, v3, vcc
	v_lshlrev_b32_e32 v11, 2, v21
	v_add_co_u32_e32 v2, vcc, v2, v11
	v_not_b32_e32 v26, v26
	v_not_b32_e32 v6, v27
	v_addc_co_u32_e32 v3, vcc, 0, v3, vcc
	global_store_dword v[33:34], v26, off
	global_store_dword v[2:3], v6, off
	s_waitcnt lgkmcnt(1)
	v_lshlrev_b64 v[2:3], 2, v[4:5]
	v_mov_b32_e32 v4, s59
	v_add_co_u32_e32 v2, vcc, s58, v2
	v_addc_co_u32_e32 v3, vcc, v4, v3, vcc
	v_lshlrev_b32_e32 v4, 2, v66
	v_add_co_u32_e32 v2, vcc, v2, v4
	v_not_b32_e32 v6, v28
	v_addc_co_u32_e32 v3, vcc, 0, v3, vcc
	global_store_dword v[2:3], v6, off
	s_waitcnt lgkmcnt(0)
	v_lshlrev_b64 v[2:3], 2, v[31:32]
	v_mov_b32_e32 v4, s59
	v_add_co_u32_e32 v5, vcc, s58, v2
	v_addc_co_u32_e32 v11, vcc, v4, v3, vcc
	ds_read2st64_b32 v[2:3], v24 offset0:40 offset1:44
	v_lshlrev_b32_e32 v4, 2, v67
	v_add_co_u32_e32 v4, vcc, v5, v4
	v_not_b32_e32 v6, v29
	v_addc_co_u32_e32 v5, vcc, 0, v11, vcc
	global_store_dword v[4:5], v6, off
	s_waitcnt lgkmcnt(0)
	v_lshrrev_b32_e32 v4, s68, v2
	v_and_b32_e32 v6, s9, v4
	ds_read2st64_b32 v[4:5], v24 offset0:48 offset1:52
	v_lshlrev_b32_e32 v24, 3, v6
	v_lshrrev_b32_e32 v6, s68, v3
	v_and_b32_e32 v6, s9, v6
	v_lshlrev_b32_e32 v69, 3, v6
	s_waitcnt lgkmcnt(0)
	v_lshrrev_b32_e32 v6, s68, v4
	v_and_b32_e32 v6, s9, v6
	v_lshlrev_b32_e32 v70, 3, v6
	v_lshrrev_b32_e32 v6, s68, v5
	v_and_b32_e32 v11, s9, v6
	v_lshlrev_b32_e32 v6, 3, v8
	v_mov_b32_e32 v8, s1
	v_add_co_u32_e32 v6, vcc, s0, v6
	v_addc_co_u32_e32 v8, vcc, 0, v8, vcc
	v_add_co_u32_e32 v6, vcc, v6, v7
	v_addc_co_u32_e32 v7, vcc, 0, v8, vcc
	global_load_dwordx2 v[26:27], v[6:7], off
	s_movk_i32 s0, 0x1000
	global_load_dwordx2 v[28:29], v[6:7], off offset:512
	global_load_dwordx2 v[31:32], v[6:7], off offset:1024
	;; [unrolled: 1-line block ×7, first 2 shown]
	v_add_co_u32_e32 v6, vcc, s0, v6
	v_addc_co_u32_e32 v7, vcc, 0, v7, vcc
	global_load_dwordx2 v[43:44], v[6:7], off
	global_load_dwordx2 v[45:46], v[6:7], off offset:512
	v_lshlrev_b32_e32 v8, 3, v11
	ds_read_b64 v[47:48], v24
	ds_read_b64 v[49:50], v69
	;; [unrolled: 1-line block ×4, first 2 shown]
	global_load_dwordx2 v[55:56], v[6:7], off offset:1024
	s_waitcnt lgkmcnt(3)
	v_lshlrev_b64 v[47:48], 2, v[47:48]
	global_load_dwordx2 v[6:7], v[6:7], off offset:1536
	v_mov_b32_e32 v11, s59
	v_add_co_u32_e32 v15, vcc, s58, v47
	v_addc_co_u32_e32 v11, vcc, v11, v48, vcc
	v_lshlrev_b32_e32 v47, 2, v68
	v_add_co_u32_e32 v47, vcc, v15, v47
	v_not_b32_e32 v2, v2
	v_addc_co_u32_e32 v48, vcc, 0, v11, vcc
	global_store_dword v[47:48], v2, off
	v_not_b32_e32 v11, v3
	s_waitcnt lgkmcnt(2)
	v_lshlrev_b64 v[2:3], 2, v[49:50]
	v_or_b32_e32 v47, 0x900, v0
	v_mov_b32_e32 v15, s59
	v_add_co_u32_e32 v2, vcc, s58, v2
	v_addc_co_u32_e32 v3, vcc, v15, v3, vcc
	v_lshlrev_b32_e32 v15, 2, v47
	v_add_co_u32_e32 v2, vcc, v2, v15
	v_addc_co_u32_e32 v3, vcc, 0, v3, vcc
	global_store_dword v[2:3], v11, off
	s_waitcnt lgkmcnt(1)
	v_lshlrev_b64 v[2:3], 2, v[51:52]
	v_or_b32_e32 v48, 0xa00, v0
	v_mov_b32_e32 v11, s59
	v_add_co_u32_e32 v2, vcc, s58, v2
	v_addc_co_u32_e32 v3, vcc, v11, v3, vcc
	v_lshlrev_b32_e32 v11, 2, v48
	v_add_co_u32_e32 v2, vcc, v2, v11
	v_not_b32_e32 v4, v4
	v_addc_co_u32_e32 v3, vcc, 0, v3, vcc
	global_store_dword v[2:3], v4, off
	s_waitcnt lgkmcnt(0)
	v_lshlrev_b64 v[2:3], 2, v[53:54]
	v_or_b32_e32 v0, 0xb00, v0
	v_not_b32_e32 v4, v5
	v_mov_b32_e32 v5, s59
	v_add_co_u32_e32 v2, vcc, s58, v2
	v_addc_co_u32_e32 v3, vcc, v5, v3, vcc
	v_lshlrev_b32_e32 v5, 2, v0
	v_add_co_u32_e32 v2, vcc, v2, v5
	v_addc_co_u32_e32 v3, vcc, 0, v3, vcc
	global_store_dword v[2:3], v4, off
	v_lshlrev_b32_e32 v2, 3, v30
	s_waitcnt vmcnt(0)
	s_barrier
	v_lshlrev_b32_e32 v0, 3, v0
	ds_write_b64 v2, v[26:27] offset:2048
	v_lshlrev_b32_e32 v2, 3, v25
	ds_write_b64 v2, v[28:29] offset:2048
	;; [unrolled: 2-line block ×12, first 2 shown]
	s_waitcnt lgkmcnt(0)
	s_barrier
	ds_read_b64 v[6:7], v58
	ds_read2st64_b64 v[2:5], v1 offset0:4 offset1:8
	ds_read_b64 v[11:12], v59
	ds_read_b64 v[13:14], v60
	;; [unrolled: 1-line block ×3, first 2 shown]
	s_waitcnt lgkmcnt(4)
	v_lshlrev_b64 v[6:7], 3, v[6:7]
	v_mov_b32_e32 v17, s63
	v_add_co_u32_e32 v6, vcc, s62, v6
	v_addc_co_u32_e32 v7, vcc, v17, v7, vcc
	v_add_co_u32_e32 v6, vcc, v6, v1
	v_addc_co_u32_e32 v7, vcc, 0, v7, vcc
	s_waitcnt lgkmcnt(3)
	global_store_dwordx2 v[6:7], v[2:3], off
	s_waitcnt lgkmcnt(2)
	v_lshlrev_b64 v[2:3], 3, v[11:12]
	v_mov_b32_e32 v6, s63
	v_add_co_u32_e32 v2, vcc, s62, v2
	v_addc_co_u32_e32 v3, vcc, v6, v3, vcc
	v_add_co_u32_e32 v2, vcc, v2, v1
	v_addc_co_u32_e32 v3, vcc, 0, v3, vcc
	s_waitcnt lgkmcnt(1)
	v_lshlrev_b64 v[6:7], 3, v[13:14]
	global_store_dwordx2 v[2:3], v[4:5], off offset:2048
	ds_read2st64_b64 v[2:5], v1 offset0:12 offset1:16
	v_mov_b32_e32 v11, s63
	v_add_co_u32_e32 v6, vcc, s62, v6
	v_addc_co_u32_e32 v7, vcc, v11, v7, vcc
	v_or_b32_e32 v11, 0x1000, v1
	v_add_co_u32_e32 v6, vcc, v6, v11
	v_addc_co_u32_e32 v7, vcc, 0, v7, vcc
	s_waitcnt lgkmcnt(0)
	global_store_dwordx2 v[6:7], v[2:3], off
	v_lshlrev_b64 v[2:3], 3, v[15:16]
	v_mov_b32_e32 v6, s63
	v_add_co_u32_e32 v2, vcc, s62, v2
	v_addc_co_u32_e32 v3, vcc, v6, v3, vcc
	v_or_b32_e32 v6, 0x1800, v1
	v_add_co_u32_e32 v2, vcc, v2, v6
	v_addc_co_u32_e32 v3, vcc, 0, v3, vcc
	global_store_dwordx2 v[2:3], v[4:5], off
	ds_read_b64 v[6:7], v62
	ds_read2st64_b64 v[2:5], v1 offset0:20 offset1:24
	ds_read_b64 v[11:12], v63
	ds_read_b64 v[13:14], v64
	;; [unrolled: 1-line block ×3, first 2 shown]
	s_waitcnt lgkmcnt(4)
	v_lshlrev_b64 v[6:7], 3, v[6:7]
	v_add_co_u32_e32 v6, vcc, s62, v6
	v_addc_co_u32_e32 v7, vcc, v17, v7, vcc
	v_lshlrev_b32_e32 v17, 3, v57
	v_add_co_u32_e32 v6, vcc, v6, v17
	v_addc_co_u32_e32 v7, vcc, 0, v7, vcc
	s_waitcnt lgkmcnt(3)
	global_store_dwordx2 v[6:7], v[2:3], off
	s_waitcnt lgkmcnt(2)
	v_lshlrev_b64 v[2:3], 3, v[11:12]
	v_mov_b32_e32 v6, s63
	v_add_co_u32_e32 v2, vcc, s62, v2
	v_addc_co_u32_e32 v3, vcc, v6, v3, vcc
	v_lshlrev_b32_e32 v6, 3, v21
	v_add_co_u32_e32 v2, vcc, v2, v6
	v_addc_co_u32_e32 v3, vcc, 0, v3, vcc
	s_waitcnt lgkmcnt(1)
	v_lshlrev_b64 v[6:7], 3, v[13:14]
	global_store_dwordx2 v[2:3], v[4:5], off
	ds_read2st64_b64 v[2:5], v1 offset0:28 offset1:32
	v_mov_b32_e32 v11, s63
	v_add_co_u32_e32 v6, vcc, s62, v6
	v_addc_co_u32_e32 v7, vcc, v11, v7, vcc
	v_lshlrev_b32_e32 v11, 3, v66
	v_add_co_u32_e32 v6, vcc, v6, v11
	v_addc_co_u32_e32 v7, vcc, 0, v7, vcc
	s_waitcnt lgkmcnt(0)
	global_store_dwordx2 v[6:7], v[2:3], off
	v_lshlrev_b64 v[2:3], 3, v[15:16]
	v_mov_b32_e32 v6, s63
	v_add_co_u32_e32 v2, vcc, s62, v2
	v_addc_co_u32_e32 v3, vcc, v6, v3, vcc
	v_lshlrev_b32_e32 v6, 3, v67
	v_add_co_u32_e32 v2, vcc, v2, v6
	v_addc_co_u32_e32 v3, vcc, 0, v3, vcc
	global_store_dwordx2 v[2:3], v[4:5], off
	ds_read_b64 v[6:7], v24
	ds_read2st64_b64 v[2:5], v1 offset0:36 offset1:40
	ds_read_b64 v[11:12], v69
	ds_read_b64 v[13:14], v70
	;; [unrolled: 1-line block ×3, first 2 shown]
	s_waitcnt lgkmcnt(4)
	v_lshlrev_b64 v[6:7], 3, v[6:7]
	v_mov_b32_e32 v8, s63
	v_add_co_u32_e32 v6, vcc, s62, v6
	v_addc_co_u32_e32 v7, vcc, v8, v7, vcc
	v_lshlrev_b32_e32 v8, 3, v68
	v_add_co_u32_e32 v6, vcc, v6, v8
	v_addc_co_u32_e32 v7, vcc, 0, v7, vcc
	s_waitcnt lgkmcnt(3)
	global_store_dwordx2 v[6:7], v[2:3], off
	s_waitcnt lgkmcnt(2)
	v_lshlrev_b64 v[2:3], 3, v[11:12]
	v_mov_b32_e32 v6, s63
	v_add_co_u32_e32 v2, vcc, s62, v2
	v_addc_co_u32_e32 v3, vcc, v6, v3, vcc
	v_lshlrev_b32_e32 v6, 3, v47
	v_add_co_u32_e32 v2, vcc, v2, v6
	v_addc_co_u32_e32 v3, vcc, 0, v3, vcc
	s_waitcnt lgkmcnt(1)
	v_lshlrev_b64 v[6:7], 3, v[13:14]
	global_store_dwordx2 v[2:3], v[4:5], off
	ds_read2st64_b64 v[2:5], v1 offset0:44 offset1:48
	v_mov_b32_e32 v8, s63
	v_add_co_u32_e32 v6, vcc, s62, v6
	v_addc_co_u32_e32 v7, vcc, v8, v7, vcc
	v_lshlrev_b32_e32 v8, 3, v48
	v_add_co_u32_e32 v6, vcc, v6, v8
	v_addc_co_u32_e32 v7, vcc, 0, v7, vcc
	s_waitcnt lgkmcnt(0)
	global_store_dwordx2 v[6:7], v[2:3], off
	v_lshlrev_b64 v[2:3], 3, v[15:16]
	v_mov_b32_e32 v6, s63
	v_add_co_u32_e32 v2, vcc, s62, v2
	v_addc_co_u32_e32 v3, vcc, v6, v3, vcc
	v_add_co_u32_e32 v2, vcc, v2, v0
	v_addc_co_u32_e32 v3, vcc, 0, v3, vcc
	global_store_dwordx2 v[2:3], v[4:5], off
	s_cbranch_scc1 .LBB14_195
; %bb.194:
	ds_read_b64 v[2:3], v1
	v_add_co_u32_e32 v0, vcc, v10, v9
	v_addc_co_u32_e64 v4, s[0:1], 0, 0, vcc
	s_waitcnt lgkmcnt(0)
	v_add_co_u32_e32 v2, vcc, v0, v2
	v_addc_co_u32_e32 v3, vcc, v4, v3, vcc
	global_store_dwordx2 v1, v[2:3], s[66:67]
.LBB14_195:
	s_endpgm
.LBB14_196:
	s_or_b64 exec, exec, s[0:1]
	s_and_saveexec_b64 s[0:1], s[26:27]
	s_cbranch_execz .LBB14_139
.LBB14_197:
	v_lshlrev_b32_e32 v3, 3, v62
	ds_read_b64 v[3:4], v3
	ds_read_b64 v[5:6], v32 offset:4096
	v_mov_b32_e32 v7, s63
	s_waitcnt lgkmcnt(1)
	v_lshlrev_b64 v[3:4], 3, v[3:4]
	v_add_co_u32_e32 v3, vcc, s62, v3
	v_addc_co_u32_e32 v4, vcc, v7, v4, vcc
	v_add_co_u32_e32 v3, vcc, v3, v32
	v_addc_co_u32_e32 v4, vcc, 0, v4, vcc
	s_waitcnt lgkmcnt(0)
	global_store_dwordx2 v[3:4], v[5:6], off offset:2048
	s_or_b64 exec, exec, s[0:1]
	s_and_saveexec_b64 s[0:1], s[28:29]
	s_cbranch_execnz .LBB14_140
.LBB14_198:
	s_or_b64 exec, exec, s[0:1]
	s_and_saveexec_b64 s[0:1], s[30:31]
	s_cbranch_execz .LBB14_141
.LBB14_199:
	v_lshlrev_b32_e32 v3, 3, v60
	ds_read_b64 v[3:4], v3
	ds_read_b64 v[5:6], v32 offset:8192
	v_mov_b32_e32 v7, s63
	s_waitcnt lgkmcnt(1)
	v_lshlrev_b64 v[3:4], 3, v[3:4]
	v_add_co_u32_e32 v3, vcc, s62, v3
	v_addc_co_u32_e32 v4, vcc, v7, v4, vcc
	v_lshlrev_b32_e32 v7, 3, v46
	v_add_co_u32_e32 v3, vcc, v3, v7
	v_addc_co_u32_e32 v4, vcc, 0, v4, vcc
	s_waitcnt lgkmcnt(0)
	global_store_dwordx2 v[3:4], v[5:6], off
	s_or_b64 exec, exec, s[0:1]
	s_and_saveexec_b64 s[0:1], s[34:35]
	s_cbranch_execnz .LBB14_142
.LBB14_200:
	s_or_b64 exec, exec, s[0:1]
	s_and_saveexec_b64 s[0:1], s[36:37]
	s_cbranch_execz .LBB14_143
.LBB14_201:
	v_lshlrev_b32_e32 v3, 3, v58
	ds_read_b64 v[3:4], v3
	ds_read_b64 v[5:6], v32 offset:12288
	v_mov_b32_e32 v7, s63
	s_waitcnt lgkmcnt(1)
	v_lshlrev_b64 v[3:4], 3, v[3:4]
	v_add_co_u32_e32 v3, vcc, s62, v3
	v_addc_co_u32_e32 v4, vcc, v7, v4, vcc
	v_lshlrev_b32_e32 v7, 3, v48
	v_add_co_u32_e32 v3, vcc, v3, v7
	v_addc_co_u32_e32 v4, vcc, 0, v4, vcc
	s_waitcnt lgkmcnt(0)
	global_store_dwordx2 v[3:4], v[5:6], off
	s_or_b64 exec, exec, s[0:1]
	s_and_saveexec_b64 s[0:1], s[38:39]
	s_cbranch_execnz .LBB14_144
.LBB14_202:
	s_or_b64 exec, exec, s[0:1]
	s_and_saveexec_b64 s[0:1], s[40:41]
	s_cbranch_execz .LBB14_145
.LBB14_203:
	v_lshlrev_b32_e32 v3, 3, v56
	ds_read_b64 v[3:4], v3
	ds_read_b64 v[5:6], v32 offset:16384
	v_mov_b32_e32 v7, s63
	s_waitcnt lgkmcnt(1)
	v_lshlrev_b64 v[3:4], 3, v[3:4]
	v_add_co_u32_e32 v3, vcc, s62, v3
	v_addc_co_u32_e32 v4, vcc, v7, v4, vcc
	v_lshlrev_b32_e32 v7, 3, v50
	v_add_co_u32_e32 v3, vcc, v3, v7
	v_addc_co_u32_e32 v4, vcc, 0, v4, vcc
	s_waitcnt lgkmcnt(0)
	global_store_dwordx2 v[3:4], v[5:6], off
	s_or_b64 exec, exec, s[0:1]
	s_and_saveexec_b64 s[0:1], s[42:43]
	s_cbranch_execnz .LBB14_146
.LBB14_204:
	s_or_b64 exec, exec, s[0:1]
	s_and_saveexec_b64 s[0:1], s[44:45]
	s_cbranch_execz .LBB14_147
.LBB14_205:
	v_lshlrev_b32_e32 v3, 3, v28
	ds_read_b64 v[3:4], v3
	ds_read_b64 v[5:6], v32 offset:20480
	v_mov_b32_e32 v7, s63
	s_waitcnt lgkmcnt(1)
	v_lshlrev_b64 v[3:4], 3, v[3:4]
	v_add_co_u32_e32 v3, vcc, s62, v3
	v_addc_co_u32_e32 v4, vcc, v7, v4, vcc
	v_lshlrev_b32_e32 v7, 3, v52
	v_add_co_u32_e32 v3, vcc, v3, v7
	v_addc_co_u32_e32 v4, vcc, 0, v4, vcc
	s_waitcnt lgkmcnt(0)
	global_store_dwordx2 v[3:4], v[5:6], off
	s_or_b64 exec, exec, s[0:1]
	s_and_saveexec_b64 s[0:1], s[46:47]
	s_cbranch_execnz .LBB14_148
.LBB14_206:
	s_or_b64 exec, exec, s[0:1]
	s_and_saveexec_b64 s[0:1], s[48:49]
	s_cbranch_execz .LBB14_149
.LBB14_207:
	v_lshlrev_b32_e32 v3, 3, v27
	ds_read_b64 v[3:4], v3
	ds_read_b64 v[5:6], v32 offset:24576
	v_mov_b32_e32 v7, s63
	s_waitcnt lgkmcnt(1)
	v_lshlrev_b64 v[3:4], 3, v[3:4]
	v_add_co_u32_e32 v3, vcc, s62, v3
	v_addc_co_u32_e32 v4, vcc, v7, v4, vcc
	v_lshlrev_b32_e32 v7, 3, v54
	v_add_co_u32_e32 v3, vcc, v3, v7
	v_addc_co_u32_e32 v4, vcc, 0, v4, vcc
	s_waitcnt lgkmcnt(0)
	global_store_dwordx2 v[3:4], v[5:6], off
	s_or_b64 exec, exec, s[0:1]
	s_add_i32 s33, s33, -1
	s_cmp_eq_u32 s6, s33
	s_cbranch_scc1 .LBB14_150
	s_branch .LBB14_151
	.section	.rodata,"a",@progbits
	.p2align	6, 0x0
	.amdhsa_kernel _ZN7rocprim17ROCPRIM_304000_NS6detail25onesweep_iteration_kernelINS1_34wrapped_radix_sort_onesweep_configINS0_14default_configEjN2at4cuda3cub6detail10OpaqueTypeILi8EEEEELb1EPKjPjPKSA_PSA_mNS0_19identity_decomposerEEEvT1_T2_T3_T4_jPT5_SO_PNS1_23onesweep_lookback_stateET6_jjj
		.amdhsa_group_segment_fixed_size 26624
		.amdhsa_private_segment_fixed_size 0
		.amdhsa_kernarg_size 336
		.amdhsa_user_sgpr_count 6
		.amdhsa_user_sgpr_private_segment_buffer 1
		.amdhsa_user_sgpr_dispatch_ptr 0
		.amdhsa_user_sgpr_queue_ptr 0
		.amdhsa_user_sgpr_kernarg_segment_ptr 1
		.amdhsa_user_sgpr_dispatch_id 0
		.amdhsa_user_sgpr_flat_scratch_init 0
		.amdhsa_user_sgpr_private_segment_size 0
		.amdhsa_uses_dynamic_stack 0
		.amdhsa_system_sgpr_private_segment_wavefront_offset 0
		.amdhsa_system_sgpr_workgroup_id_x 1
		.amdhsa_system_sgpr_workgroup_id_y 0
		.amdhsa_system_sgpr_workgroup_id_z 0
		.amdhsa_system_sgpr_workgroup_info 0
		.amdhsa_system_vgpr_workitem_id 2
		.amdhsa_next_free_vgpr 85
		.amdhsa_next_free_sgpr 98
		.amdhsa_reserve_vcc 1
		.amdhsa_reserve_flat_scratch 0
		.amdhsa_float_round_mode_32 0
		.amdhsa_float_round_mode_16_64 0
		.amdhsa_float_denorm_mode_32 3
		.amdhsa_float_denorm_mode_16_64 3
		.amdhsa_dx10_clamp 1
		.amdhsa_ieee_mode 1
		.amdhsa_fp16_overflow 0
		.amdhsa_exception_fp_ieee_invalid_op 0
		.amdhsa_exception_fp_denorm_src 0
		.amdhsa_exception_fp_ieee_div_zero 0
		.amdhsa_exception_fp_ieee_overflow 0
		.amdhsa_exception_fp_ieee_underflow 0
		.amdhsa_exception_fp_ieee_inexact 0
		.amdhsa_exception_int_div_zero 0
	.end_amdhsa_kernel
	.section	.text._ZN7rocprim17ROCPRIM_304000_NS6detail25onesweep_iteration_kernelINS1_34wrapped_radix_sort_onesweep_configINS0_14default_configEjN2at4cuda3cub6detail10OpaqueTypeILi8EEEEELb1EPKjPjPKSA_PSA_mNS0_19identity_decomposerEEEvT1_T2_T3_T4_jPT5_SO_PNS1_23onesweep_lookback_stateET6_jjj,"axG",@progbits,_ZN7rocprim17ROCPRIM_304000_NS6detail25onesweep_iteration_kernelINS1_34wrapped_radix_sort_onesweep_configINS0_14default_configEjN2at4cuda3cub6detail10OpaqueTypeILi8EEEEELb1EPKjPjPKSA_PSA_mNS0_19identity_decomposerEEEvT1_T2_T3_T4_jPT5_SO_PNS1_23onesweep_lookback_stateET6_jjj,comdat
.Lfunc_end14:
	.size	_ZN7rocprim17ROCPRIM_304000_NS6detail25onesweep_iteration_kernelINS1_34wrapped_radix_sort_onesweep_configINS0_14default_configEjN2at4cuda3cub6detail10OpaqueTypeILi8EEEEELb1EPKjPjPKSA_PSA_mNS0_19identity_decomposerEEEvT1_T2_T3_T4_jPT5_SO_PNS1_23onesweep_lookback_stateET6_jjj, .Lfunc_end14-_ZN7rocprim17ROCPRIM_304000_NS6detail25onesweep_iteration_kernelINS1_34wrapped_radix_sort_onesweep_configINS0_14default_configEjN2at4cuda3cub6detail10OpaqueTypeILi8EEEEELb1EPKjPjPKSA_PSA_mNS0_19identity_decomposerEEEvT1_T2_T3_T4_jPT5_SO_PNS1_23onesweep_lookback_stateET6_jjj
                                        ; -- End function
	.set _ZN7rocprim17ROCPRIM_304000_NS6detail25onesweep_iteration_kernelINS1_34wrapped_radix_sort_onesweep_configINS0_14default_configEjN2at4cuda3cub6detail10OpaqueTypeILi8EEEEELb1EPKjPjPKSA_PSA_mNS0_19identity_decomposerEEEvT1_T2_T3_T4_jPT5_SO_PNS1_23onesweep_lookback_stateET6_jjj.num_vgpr, 71
	.set _ZN7rocprim17ROCPRIM_304000_NS6detail25onesweep_iteration_kernelINS1_34wrapped_radix_sort_onesweep_configINS0_14default_configEjN2at4cuda3cub6detail10OpaqueTypeILi8EEEEELb1EPKjPjPKSA_PSA_mNS0_19identity_decomposerEEEvT1_T2_T3_T4_jPT5_SO_PNS1_23onesweep_lookback_stateET6_jjj.num_agpr, 0
	.set _ZN7rocprim17ROCPRIM_304000_NS6detail25onesweep_iteration_kernelINS1_34wrapped_radix_sort_onesweep_configINS0_14default_configEjN2at4cuda3cub6detail10OpaqueTypeILi8EEEEELb1EPKjPjPKSA_PSA_mNS0_19identity_decomposerEEEvT1_T2_T3_T4_jPT5_SO_PNS1_23onesweep_lookback_stateET6_jjj.numbered_sgpr, 75
	.set _ZN7rocprim17ROCPRIM_304000_NS6detail25onesweep_iteration_kernelINS1_34wrapped_radix_sort_onesweep_configINS0_14default_configEjN2at4cuda3cub6detail10OpaqueTypeILi8EEEEELb1EPKjPjPKSA_PSA_mNS0_19identity_decomposerEEEvT1_T2_T3_T4_jPT5_SO_PNS1_23onesweep_lookback_stateET6_jjj.num_named_barrier, 0
	.set _ZN7rocprim17ROCPRIM_304000_NS6detail25onesweep_iteration_kernelINS1_34wrapped_radix_sort_onesweep_configINS0_14default_configEjN2at4cuda3cub6detail10OpaqueTypeILi8EEEEELb1EPKjPjPKSA_PSA_mNS0_19identity_decomposerEEEvT1_T2_T3_T4_jPT5_SO_PNS1_23onesweep_lookback_stateET6_jjj.private_seg_size, 0
	.set _ZN7rocprim17ROCPRIM_304000_NS6detail25onesweep_iteration_kernelINS1_34wrapped_radix_sort_onesweep_configINS0_14default_configEjN2at4cuda3cub6detail10OpaqueTypeILi8EEEEELb1EPKjPjPKSA_PSA_mNS0_19identity_decomposerEEEvT1_T2_T3_T4_jPT5_SO_PNS1_23onesweep_lookback_stateET6_jjj.uses_vcc, 1
	.set _ZN7rocprim17ROCPRIM_304000_NS6detail25onesweep_iteration_kernelINS1_34wrapped_radix_sort_onesweep_configINS0_14default_configEjN2at4cuda3cub6detail10OpaqueTypeILi8EEEEELb1EPKjPjPKSA_PSA_mNS0_19identity_decomposerEEEvT1_T2_T3_T4_jPT5_SO_PNS1_23onesweep_lookback_stateET6_jjj.uses_flat_scratch, 0
	.set _ZN7rocprim17ROCPRIM_304000_NS6detail25onesweep_iteration_kernelINS1_34wrapped_radix_sort_onesweep_configINS0_14default_configEjN2at4cuda3cub6detail10OpaqueTypeILi8EEEEELb1EPKjPjPKSA_PSA_mNS0_19identity_decomposerEEEvT1_T2_T3_T4_jPT5_SO_PNS1_23onesweep_lookback_stateET6_jjj.has_dyn_sized_stack, 0
	.set _ZN7rocprim17ROCPRIM_304000_NS6detail25onesweep_iteration_kernelINS1_34wrapped_radix_sort_onesweep_configINS0_14default_configEjN2at4cuda3cub6detail10OpaqueTypeILi8EEEEELb1EPKjPjPKSA_PSA_mNS0_19identity_decomposerEEEvT1_T2_T3_T4_jPT5_SO_PNS1_23onesweep_lookback_stateET6_jjj.has_recursion, 0
	.set _ZN7rocprim17ROCPRIM_304000_NS6detail25onesweep_iteration_kernelINS1_34wrapped_radix_sort_onesweep_configINS0_14default_configEjN2at4cuda3cub6detail10OpaqueTypeILi8EEEEELb1EPKjPjPKSA_PSA_mNS0_19identity_decomposerEEEvT1_T2_T3_T4_jPT5_SO_PNS1_23onesweep_lookback_stateET6_jjj.has_indirect_call, 0
	.section	.AMDGPU.csdata,"",@progbits
; Kernel info:
; codeLenInByte = 18824
; TotalNumSgprs: 79
; NumVgprs: 71
; ScratchSize: 0
; MemoryBound: 0
; FloatMode: 240
; IeeeMode: 1
; LDSByteSize: 26624 bytes/workgroup (compile time only)
; SGPRBlocks: 12
; VGPRBlocks: 21
; NumSGPRsForWavesPerEU: 102
; NumVGPRsForWavesPerEU: 85
; Occupancy: 2
; WaveLimiterHint : 1
; COMPUTE_PGM_RSRC2:SCRATCH_EN: 0
; COMPUTE_PGM_RSRC2:USER_SGPR: 6
; COMPUTE_PGM_RSRC2:TRAP_HANDLER: 0
; COMPUTE_PGM_RSRC2:TGID_X_EN: 1
; COMPUTE_PGM_RSRC2:TGID_Y_EN: 0
; COMPUTE_PGM_RSRC2:TGID_Z_EN: 0
; COMPUTE_PGM_RSRC2:TIDIG_COMP_CNT: 2
	.section	.text._ZN7rocprim17ROCPRIM_304000_NS6detail25onesweep_iteration_kernelINS1_34wrapped_radix_sort_onesweep_configINS0_14default_configEjN2at4cuda3cub6detail10OpaqueTypeILi8EEEEELb1EPjSC_PSA_SD_mNS0_19identity_decomposerEEEvT1_T2_T3_T4_jPT5_SK_PNS1_23onesweep_lookback_stateET6_jjj,"axG",@progbits,_ZN7rocprim17ROCPRIM_304000_NS6detail25onesweep_iteration_kernelINS1_34wrapped_radix_sort_onesweep_configINS0_14default_configEjN2at4cuda3cub6detail10OpaqueTypeILi8EEEEELb1EPjSC_PSA_SD_mNS0_19identity_decomposerEEEvT1_T2_T3_T4_jPT5_SK_PNS1_23onesweep_lookback_stateET6_jjj,comdat
	.protected	_ZN7rocprim17ROCPRIM_304000_NS6detail25onesweep_iteration_kernelINS1_34wrapped_radix_sort_onesweep_configINS0_14default_configEjN2at4cuda3cub6detail10OpaqueTypeILi8EEEEELb1EPjSC_PSA_SD_mNS0_19identity_decomposerEEEvT1_T2_T3_T4_jPT5_SK_PNS1_23onesweep_lookback_stateET6_jjj ; -- Begin function _ZN7rocprim17ROCPRIM_304000_NS6detail25onesweep_iteration_kernelINS1_34wrapped_radix_sort_onesweep_configINS0_14default_configEjN2at4cuda3cub6detail10OpaqueTypeILi8EEEEELb1EPjSC_PSA_SD_mNS0_19identity_decomposerEEEvT1_T2_T3_T4_jPT5_SK_PNS1_23onesweep_lookback_stateET6_jjj
	.globl	_ZN7rocprim17ROCPRIM_304000_NS6detail25onesweep_iteration_kernelINS1_34wrapped_radix_sort_onesweep_configINS0_14default_configEjN2at4cuda3cub6detail10OpaqueTypeILi8EEEEELb1EPjSC_PSA_SD_mNS0_19identity_decomposerEEEvT1_T2_T3_T4_jPT5_SK_PNS1_23onesweep_lookback_stateET6_jjj
	.p2align	8
	.type	_ZN7rocprim17ROCPRIM_304000_NS6detail25onesweep_iteration_kernelINS1_34wrapped_radix_sort_onesweep_configINS0_14default_configEjN2at4cuda3cub6detail10OpaqueTypeILi8EEEEELb1EPjSC_PSA_SD_mNS0_19identity_decomposerEEEvT1_T2_T3_T4_jPT5_SK_PNS1_23onesweep_lookback_stateET6_jjj,@function
_ZN7rocprim17ROCPRIM_304000_NS6detail25onesweep_iteration_kernelINS1_34wrapped_radix_sort_onesweep_configINS0_14default_configEjN2at4cuda3cub6detail10OpaqueTypeILi8EEEEELb1EPjSC_PSA_SD_mNS0_19identity_decomposerEEEvT1_T2_T3_T4_jPT5_SK_PNS1_23onesweep_lookback_stateET6_jjj: ; @_ZN7rocprim17ROCPRIM_304000_NS6detail25onesweep_iteration_kernelINS1_34wrapped_radix_sort_onesweep_configINS0_14default_configEjN2at4cuda3cub6detail10OpaqueTypeILi8EEEEELb1EPjSC_PSA_SD_mNS0_19identity_decomposerEEEvT1_T2_T3_T4_jPT5_SK_PNS1_23onesweep_lookback_stateET6_jjj
; %bb.0:
	s_load_dwordx8 s[56:63], s[4:5], 0x0
	s_load_dwordx4 s[68:71], s[4:5], 0x44
	s_load_dwordx4 s[64:67], s[4:5], 0x28
	s_load_dwordx2 s[72:73], s[4:5], 0x38
	s_mov_b32 s7, s6
	s_mov_b64 s[0:1], -1
	s_waitcnt lgkmcnt(0)
	s_cmp_ge_u32 s6, s70
	s_mul_i32 s54, s6, 0xc00
	v_mbcnt_lo_u32_b32 v29, -1, 0
	s_cbranch_scc0 .LBB15_152
; %bb.1:
	s_load_dword s2, s[4:5], 0x20
	s_mulk_i32 s70, 0xf400
	s_mov_b32 s55, 0
	s_lshl_b64 s[0:1], s[54:55], 2
	v_mbcnt_hi_u32_b32 v10, -1, v29
	s_waitcnt lgkmcnt(0)
	s_add_i32 s70, s70, s2
	s_add_u32 s0, s56, s0
	s_addc_u32 s1, s57, s1
	v_and_b32_e32 v19, 0xc0, v0
	v_lshlrev_b32_e32 v3, 2, v10
	v_mul_u32_u24_e32 v9, 12, v19
	v_mov_b32_e32 v4, s1
	v_add_co_u32_e32 v3, vcc, s0, v3
	v_addc_co_u32_e32 v4, vcc, 0, v4, vcc
	v_lshlrev_b32_e32 v5, 2, v9
	v_add_co_u32_e32 v3, vcc, v3, v5
	v_addc_co_u32_e32 v4, vcc, 0, v4, vcc
	v_or_b32_e32 v5, v10, v9
	v_mov_b32_e32 v7, -1
	v_cmp_gt_u32_e32 vcc, s70, v5
	v_mov_b32_e32 v8, -1
	s_and_saveexec_b64 s[0:1], vcc
	s_cbranch_execz .LBB15_3
; %bb.2:
	global_load_dword v6, v[3:4], off
	s_waitcnt vmcnt(0)
	v_not_b32_e32 v8, v6
.LBB15_3:
	s_or_b64 exec, exec, s[0:1]
	v_add_u32_e32 v6, 64, v5
	v_cmp_gt_u32_e64 s[0:1], s70, v6
	s_and_saveexec_b64 s[2:3], s[0:1]
	s_cbranch_execz .LBB15_5
; %bb.4:
	global_load_dword v6, v[3:4], off offset:256
	s_waitcnt vmcnt(0)
	v_not_b32_e32 v7, v6
.LBB15_5:
	s_or_b64 exec, exec, s[2:3]
	v_add_u32_e32 v6, 0x80, v5
	v_cmp_gt_u32_e64 s[2:3], s70, v6
	v_mov_b32_e32 v11, -1
	v_mov_b32_e32 v12, -1
	s_and_saveexec_b64 s[8:9], s[2:3]
	s_cbranch_execz .LBB15_7
; %bb.6:
	global_load_dword v6, v[3:4], off offset:512
	s_waitcnt vmcnt(0)
	v_not_b32_e32 v12, v6
.LBB15_7:
	s_or_b64 exec, exec, s[8:9]
	v_add_u32_e32 v6, 0xc0, v5
	v_cmp_gt_u32_e64 s[50:51], s70, v6
	s_and_saveexec_b64 s[8:9], s[50:51]
	s_cbranch_execz .LBB15_9
; %bb.8:
	global_load_dword v6, v[3:4], off offset:768
	s_waitcnt vmcnt(0)
	v_not_b32_e32 v11, v6
.LBB15_9:
	s_or_b64 exec, exec, s[8:9]
	v_add_u32_e32 v6, 0x100, v5
	v_cmp_gt_u32_e64 s[8:9], s70, v6
	v_mov_b32_e32 v13, -1
	v_mov_b32_e32 v14, -1
	s_and_saveexec_b64 s[10:11], s[8:9]
	s_cbranch_execz .LBB15_11
; %bb.10:
	global_load_dword v6, v[3:4], off offset:1024
	s_waitcnt vmcnt(0)
	v_not_b32_e32 v14, v6
.LBB15_11:
	;; [unrolled: 22-line block ×5, first 2 shown]
	s_or_b64 exec, exec, s[14:15]
	v_add_u32_e32 v5, 0x2c0, v5
	v_cmp_gt_u32_e64 s[14:15], s70, v5
	s_and_saveexec_b64 s[24:25], s[14:15]
	s_cbranch_execz .LBB15_25
; %bb.24:
	global_load_dword v3, v[3:4], off offset:2816
	s_waitcnt vmcnt(0)
	v_not_b32_e32 v20, v3
.LBB15_25:
	s_or_b64 exec, exec, s[24:25]
	s_load_dword s24, s[4:5], 0x5c
	s_load_dword s33, s[4:5], 0x50
	s_add_u32 s25, s4, 0x50
	s_addc_u32 s26, s5, 0
	v_mov_b32_e32 v3, 0
	s_waitcnt lgkmcnt(0)
	s_lshr_b32 s27, s24, 16
	s_cmp_lt_u32 s6, s33
	s_cselect_b32 s24, 12, 18
	s_add_u32 s24, s25, s24
	s_addc_u32 s25, s26, 0
	global_load_ushort v5, v3, s[24:25]
	s_lshl_b32 s24, -1, s69
	v_lshrrev_b32_e32 v4, s68, v8
	s_not_b32 s74, s24
	v_and_b32_e32 v23, s74, v4
	v_and_b32_e32 v24, 1, v23
	v_add_co_u32_e64 v26, s[24:25], -1, v24
	v_lshlrev_b32_e32 v4, 30, v23
	v_addc_co_u32_e64 v27, s[24:25], 0, -1, s[24:25]
	v_mad_u32_u24 v6, v2, s27, v1
	v_cmp_ne_u32_e64 s[24:25], 0, v24
	v_cmp_gt_i64_e64 s[26:27], 0, v[3:4]
	v_not_b32_e32 v24, v4
	v_lshlrev_b32_e32 v4, 29, v23
	v_xor_b32_e32 v27, s25, v27
	v_xor_b32_e32 v26, s24, v26
	v_ashrrev_i32_e32 v24, 31, v24
	v_cmp_gt_i64_e64 s[24:25], 0, v[3:4]
	v_not_b32_e32 v28, v4
	v_lshlrev_b32_e32 v4, 28, v23
	v_and_b32_e32 v27, exec_hi, v27
	v_and_b32_e32 v26, exec_lo, v26
	v_xor_b32_e32 v30, s27, v24
	v_xor_b32_e32 v24, s26, v24
	v_ashrrev_i32_e32 v28, 31, v28
	v_cmp_gt_i64_e64 s[26:27], 0, v[3:4]
	v_not_b32_e32 v31, v4
	v_lshlrev_b32_e32 v4, 27, v23
	v_and_b32_e32 v27, v27, v30
	v_and_b32_e32 v24, v26, v24
	v_xor_b32_e32 v26, s25, v28
	v_xor_b32_e32 v28, s24, v28
	v_ashrrev_i32_e32 v30, 31, v31
	v_cmp_gt_i64_e64 s[24:25], 0, v[3:4]
	v_not_b32_e32 v31, v4
	v_lshlrev_b32_e32 v4, 26, v23
	v_and_b32_e32 v26, v27, v26
	v_and_b32_e32 v24, v24, v28
	;; [unrolled: 8-line block ×3, first 2 shown]
	v_xor_b32_e32 v27, s25, v30
	v_xor_b32_e32 v28, s24, v30
	v_ashrrev_i32_e32 v30, 31, v31
	v_cmp_gt_i64_e64 s[24:25], 0, v[3:4]
	v_not_b32_e32 v31, v4
	v_mul_lo_u32 v25, v23, 20
	v_lshlrev_b32_e32 v4, 24, v23
	v_and_b32_e32 v23, v26, v27
	v_and_b32_e32 v24, v24, v28
	v_xor_b32_e32 v26, s27, v30
	v_xor_b32_e32 v27, s26, v30
	v_ashrrev_i32_e32 v28, 31, v31
	v_and_b32_e32 v23, v23, v26
	v_and_b32_e32 v24, v24, v27
	v_xor_b32_e32 v26, s25, v28
	v_xor_b32_e32 v27, s24, v28
	v_cmp_gt_i64_e64 s[26:27], 0, v[3:4]
	v_not_b32_e32 v4, v4
	v_and_b32_e32 v26, v23, v26
	v_and_b32_e32 v27, v24, v27
	v_ashrrev_i32_e32 v4, 31, v4
	v_xor_b32_e32 v28, s27, v4
	v_xor_b32_e32 v4, s26, v4
	v_and_b32_e32 v4, v27, v4
	v_mul_u32_u24_e32 v22, 20, v0
	ds_write2_b32 v22, v3, v3 offset0:4 offset1:5
	ds_write2_b32 v22, v3, v3 offset0:6 offset1:7
	ds_write_b32 v22, v3 offset:32
	s_waitcnt vmcnt(0) lgkmcnt(0)
	s_barrier
	; wave barrier
	v_mad_u64_u32 v[23:24], s[24:25], v6, v5, v[0:1]
	v_and_b32_e32 v5, v26, v28
	v_cmp_ne_u64_e64 s[24:25], 0, v[4:5]
	v_lshrrev_b32_e32 v6, 6, v23
	v_mbcnt_lo_u32_b32 v23, v4, 0
	v_mbcnt_hi_u32_b32 v23, v5, v23
	v_cmp_eq_u32_e64 s[26:27], 0, v23
	v_lshl_add_u32 v24, v6, 2, v25
	s_and_b64 s[26:27], s[24:25], s[26:27]
	s_and_saveexec_b64 s[24:25], s[26:27]
; %bb.26:
	v_bcnt_u32_b32 v4, v4, 0
	v_bcnt_u32_b32 v4, v5, v4
	ds_write_b32 v24, v4 offset:16
; %bb.27:
	s_or_b64 exec, exec, s[24:25]
	v_lshrrev_b32_e32 v4, s68, v7
	v_and_b32_e32 v5, s74, v4
	v_mul_lo_u32 v4, v5, 20
	v_and_b32_e32 v27, 1, v5
	; wave barrier
	v_lshl_add_u32 v26, v6, 2, v4
	v_add_co_u32_e64 v4, s[24:25], -1, v27
	v_addc_co_u32_e64 v28, s[24:25], 0, -1, s[24:25]
	v_cmp_ne_u32_e64 s[24:25], 0, v27
	v_xor_b32_e32 v4, s24, v4
	v_xor_b32_e32 v27, s25, v28
	v_and_b32_e32 v28, exec_lo, v4
	v_lshlrev_b32_e32 v4, 30, v5
	v_cmp_gt_i64_e64 s[24:25], 0, v[3:4]
	v_not_b32_e32 v4, v4
	v_ashrrev_i32_e32 v4, 31, v4
	v_xor_b32_e32 v30, s25, v4
	v_xor_b32_e32 v4, s24, v4
	v_and_b32_e32 v28, v28, v4
	v_lshlrev_b32_e32 v4, 29, v5
	v_cmp_gt_i64_e64 s[24:25], 0, v[3:4]
	v_not_b32_e32 v4, v4
	v_and_b32_e32 v27, exec_hi, v27
	v_ashrrev_i32_e32 v4, 31, v4
	v_and_b32_e32 v27, v27, v30
	v_xor_b32_e32 v30, s25, v4
	v_xor_b32_e32 v4, s24, v4
	v_and_b32_e32 v28, v28, v4
	v_lshlrev_b32_e32 v4, 28, v5
	v_cmp_gt_i64_e64 s[24:25], 0, v[3:4]
	v_not_b32_e32 v4, v4
	v_ashrrev_i32_e32 v4, 31, v4
	v_and_b32_e32 v27, v27, v30
	v_xor_b32_e32 v30, s25, v4
	v_xor_b32_e32 v4, s24, v4
	v_and_b32_e32 v28, v28, v4
	v_lshlrev_b32_e32 v4, 27, v5
	v_cmp_gt_i64_e64 s[24:25], 0, v[3:4]
	v_not_b32_e32 v4, v4
	;; [unrolled: 8-line block ×5, first 2 shown]
	v_ashrrev_i32_e32 v3, 31, v3
	v_xor_b32_e32 v4, s25, v3
	v_xor_b32_e32 v3, s24, v3
	ds_read_b32 v25, v26 offset:16
	v_and_b32_e32 v27, v27, v30
	v_and_b32_e32 v3, v28, v3
	;; [unrolled: 1-line block ×3, first 2 shown]
	v_mbcnt_lo_u32_b32 v5, v3, 0
	v_mbcnt_hi_u32_b32 v27, v4, v5
	v_cmp_ne_u64_e64 s[24:25], 0, v[3:4]
	v_cmp_eq_u32_e64 s[26:27], 0, v27
	s_and_b64 s[26:27], s[24:25], s[26:27]
	; wave barrier
	s_and_saveexec_b64 s[24:25], s[26:27]
	s_cbranch_execz .LBB15_29
; %bb.28:
	v_bcnt_u32_b32 v3, v3, 0
	v_bcnt_u32_b32 v3, v4, v3
	s_waitcnt lgkmcnt(0)
	v_add_u32_e32 v3, v25, v3
	ds_write_b32 v26, v3 offset:16
.LBB15_29:
	s_or_b64 exec, exec, s[24:25]
	v_lshrrev_b32_e32 v3, s68, v12
	v_and_b32_e32 v5, s74, v3
	v_and_b32_e32 v4, 1, v5
	v_mul_lo_u32 v3, v5, 20
	v_add_co_u32_e64 v31, s[24:25], -1, v4
	v_addc_co_u32_e64 v32, s[24:25], 0, -1, s[24:25]
	v_cmp_ne_u32_e64 s[24:25], 0, v4
	v_xor_b32_e32 v4, s25, v32
	v_lshl_add_u32 v30, v6, 2, v3
	v_mov_b32_e32 v3, 0
	v_and_b32_e32 v32, exec_hi, v4
	v_lshlrev_b32_e32 v4, 30, v5
	v_xor_b32_e32 v31, s24, v31
	v_cmp_gt_i64_e64 s[24:25], 0, v[3:4]
	v_not_b32_e32 v4, v4
	v_ashrrev_i32_e32 v4, 31, v4
	v_and_b32_e32 v31, exec_lo, v31
	v_xor_b32_e32 v33, s25, v4
	v_xor_b32_e32 v4, s24, v4
	v_and_b32_e32 v31, v31, v4
	v_lshlrev_b32_e32 v4, 29, v5
	v_cmp_gt_i64_e64 s[24:25], 0, v[3:4]
	v_not_b32_e32 v4, v4
	v_ashrrev_i32_e32 v4, 31, v4
	v_and_b32_e32 v32, v32, v33
	v_xor_b32_e32 v33, s25, v4
	v_xor_b32_e32 v4, s24, v4
	v_and_b32_e32 v31, v31, v4
	v_lshlrev_b32_e32 v4, 28, v5
	v_cmp_gt_i64_e64 s[24:25], 0, v[3:4]
	v_not_b32_e32 v4, v4
	v_ashrrev_i32_e32 v4, 31, v4
	v_and_b32_e32 v32, v32, v33
	;; [unrolled: 8-line block ×5, first 2 shown]
	v_xor_b32_e32 v33, s25, v4
	v_xor_b32_e32 v4, s24, v4
	v_and_b32_e32 v31, v31, v4
	v_lshlrev_b32_e32 v4, 24, v5
	v_cmp_gt_i64_e64 s[24:25], 0, v[3:4]
	v_not_b32_e32 v4, v4
	v_ashrrev_i32_e32 v4, 31, v4
	v_xor_b32_e32 v5, s25, v4
	v_xor_b32_e32 v4, s24, v4
	; wave barrier
	ds_read_b32 v28, v30 offset:16
	v_and_b32_e32 v32, v32, v33
	v_and_b32_e32 v4, v31, v4
	;; [unrolled: 1-line block ×3, first 2 shown]
	v_mbcnt_lo_u32_b32 v31, v4, 0
	v_mbcnt_hi_u32_b32 v31, v5, v31
	v_cmp_ne_u64_e64 s[24:25], 0, v[4:5]
	v_cmp_eq_u32_e64 s[26:27], 0, v31
	s_and_b64 s[26:27], s[24:25], s[26:27]
	; wave barrier
	s_and_saveexec_b64 s[24:25], s[26:27]
	s_cbranch_execz .LBB15_31
; %bb.30:
	v_bcnt_u32_b32 v4, v4, 0
	v_bcnt_u32_b32 v4, v5, v4
	s_waitcnt lgkmcnt(0)
	v_add_u32_e32 v4, v28, v4
	ds_write_b32 v30, v4 offset:16
.LBB15_31:
	s_or_b64 exec, exec, s[24:25]
	v_lshrrev_b32_e32 v4, s68, v11
	v_and_b32_e32 v5, s74, v4
	v_mul_lo_u32 v4, v5, 20
	v_and_b32_e32 v34, 1, v5
	; wave barrier
	v_lshl_add_u32 v33, v6, 2, v4
	v_add_co_u32_e64 v4, s[24:25], -1, v34
	v_addc_co_u32_e64 v35, s[24:25], 0, -1, s[24:25]
	v_cmp_ne_u32_e64 s[24:25], 0, v34
	v_xor_b32_e32 v4, s24, v4
	v_xor_b32_e32 v34, s25, v35
	v_and_b32_e32 v35, exec_lo, v4
	v_lshlrev_b32_e32 v4, 30, v5
	v_cmp_gt_i64_e64 s[24:25], 0, v[3:4]
	v_not_b32_e32 v4, v4
	v_ashrrev_i32_e32 v4, 31, v4
	v_xor_b32_e32 v36, s25, v4
	v_xor_b32_e32 v4, s24, v4
	v_and_b32_e32 v35, v35, v4
	v_lshlrev_b32_e32 v4, 29, v5
	v_cmp_gt_i64_e64 s[24:25], 0, v[3:4]
	v_not_b32_e32 v4, v4
	v_and_b32_e32 v34, exec_hi, v34
	v_ashrrev_i32_e32 v4, 31, v4
	v_and_b32_e32 v34, v34, v36
	v_xor_b32_e32 v36, s25, v4
	v_xor_b32_e32 v4, s24, v4
	v_and_b32_e32 v35, v35, v4
	v_lshlrev_b32_e32 v4, 28, v5
	v_cmp_gt_i64_e64 s[24:25], 0, v[3:4]
	v_not_b32_e32 v4, v4
	v_ashrrev_i32_e32 v4, 31, v4
	v_and_b32_e32 v34, v34, v36
	v_xor_b32_e32 v36, s25, v4
	v_xor_b32_e32 v4, s24, v4
	v_and_b32_e32 v35, v35, v4
	v_lshlrev_b32_e32 v4, 27, v5
	v_cmp_gt_i64_e64 s[24:25], 0, v[3:4]
	v_not_b32_e32 v4, v4
	v_ashrrev_i32_e32 v4, 31, v4
	v_and_b32_e32 v34, v34, v36
	v_xor_b32_e32 v36, s25, v4
	v_xor_b32_e32 v4, s24, v4
	v_and_b32_e32 v35, v35, v4
	v_lshlrev_b32_e32 v4, 26, v5
	v_cmp_gt_i64_e64 s[24:25], 0, v[3:4]
	v_not_b32_e32 v4, v4
	v_ashrrev_i32_e32 v4, 31, v4
	v_and_b32_e32 v34, v34, v36
	v_xor_b32_e32 v36, s25, v4
	v_xor_b32_e32 v4, s24, v4
	v_and_b32_e32 v35, v35, v4
	v_lshlrev_b32_e32 v4, 25, v5
	v_cmp_gt_i64_e64 s[24:25], 0, v[3:4]
	v_not_b32_e32 v4, v4
	v_ashrrev_i32_e32 v4, 31, v4
	v_and_b32_e32 v34, v34, v36
	v_xor_b32_e32 v36, s25, v4
	v_xor_b32_e32 v4, s24, v4
	v_and_b32_e32 v35, v35, v4
	v_lshlrev_b32_e32 v4, 24, v5
	v_cmp_gt_i64_e64 s[24:25], 0, v[3:4]
	v_not_b32_e32 v3, v4
	v_ashrrev_i32_e32 v3, 31, v3
	v_xor_b32_e32 v4, s25, v3
	v_xor_b32_e32 v3, s24, v3
	ds_read_b32 v32, v33 offset:16
	v_and_b32_e32 v34, v34, v36
	v_and_b32_e32 v3, v35, v3
	v_and_b32_e32 v4, v34, v4
	v_mbcnt_lo_u32_b32 v5, v3, 0
	v_mbcnt_hi_u32_b32 v34, v4, v5
	v_cmp_ne_u64_e64 s[24:25], 0, v[3:4]
	v_cmp_eq_u32_e64 s[26:27], 0, v34
	s_and_b64 s[26:27], s[24:25], s[26:27]
	; wave barrier
	s_and_saveexec_b64 s[24:25], s[26:27]
	s_cbranch_execz .LBB15_33
; %bb.32:
	v_bcnt_u32_b32 v3, v3, 0
	v_bcnt_u32_b32 v3, v4, v3
	s_waitcnt lgkmcnt(0)
	v_add_u32_e32 v3, v32, v3
	ds_write_b32 v33, v3 offset:16
.LBB15_33:
	s_or_b64 exec, exec, s[24:25]
	v_lshrrev_b32_e32 v3, s68, v14
	v_and_b32_e32 v5, s74, v3
	v_and_b32_e32 v4, 1, v5
	v_mul_lo_u32 v3, v5, 20
	v_add_co_u32_e64 v37, s[24:25], -1, v4
	v_addc_co_u32_e64 v38, s[24:25], 0, -1, s[24:25]
	v_cmp_ne_u32_e64 s[24:25], 0, v4
	v_xor_b32_e32 v4, s25, v38
	v_lshl_add_u32 v36, v6, 2, v3
	v_mov_b32_e32 v3, 0
	v_and_b32_e32 v38, exec_hi, v4
	v_lshlrev_b32_e32 v4, 30, v5
	v_xor_b32_e32 v37, s24, v37
	v_cmp_gt_i64_e64 s[24:25], 0, v[3:4]
	v_not_b32_e32 v4, v4
	v_ashrrev_i32_e32 v4, 31, v4
	v_and_b32_e32 v37, exec_lo, v37
	v_xor_b32_e32 v39, s25, v4
	v_xor_b32_e32 v4, s24, v4
	v_and_b32_e32 v37, v37, v4
	v_lshlrev_b32_e32 v4, 29, v5
	v_cmp_gt_i64_e64 s[24:25], 0, v[3:4]
	v_not_b32_e32 v4, v4
	v_ashrrev_i32_e32 v4, 31, v4
	v_and_b32_e32 v38, v38, v39
	v_xor_b32_e32 v39, s25, v4
	v_xor_b32_e32 v4, s24, v4
	v_and_b32_e32 v37, v37, v4
	v_lshlrev_b32_e32 v4, 28, v5
	v_cmp_gt_i64_e64 s[24:25], 0, v[3:4]
	v_not_b32_e32 v4, v4
	v_ashrrev_i32_e32 v4, 31, v4
	v_and_b32_e32 v38, v38, v39
	;; [unrolled: 8-line block ×5, first 2 shown]
	v_xor_b32_e32 v39, s25, v4
	v_xor_b32_e32 v4, s24, v4
	v_and_b32_e32 v37, v37, v4
	v_lshlrev_b32_e32 v4, 24, v5
	v_cmp_gt_i64_e64 s[24:25], 0, v[3:4]
	v_not_b32_e32 v4, v4
	v_ashrrev_i32_e32 v4, 31, v4
	v_xor_b32_e32 v5, s25, v4
	v_xor_b32_e32 v4, s24, v4
	; wave barrier
	ds_read_b32 v35, v36 offset:16
	v_and_b32_e32 v38, v38, v39
	v_and_b32_e32 v4, v37, v4
	v_and_b32_e32 v5, v38, v5
	v_mbcnt_lo_u32_b32 v37, v4, 0
	v_mbcnt_hi_u32_b32 v37, v5, v37
	v_cmp_ne_u64_e64 s[24:25], 0, v[4:5]
	v_cmp_eq_u32_e64 s[26:27], 0, v37
	s_and_b64 s[26:27], s[24:25], s[26:27]
	; wave barrier
	s_and_saveexec_b64 s[24:25], s[26:27]
	s_cbranch_execz .LBB15_35
; %bb.34:
	v_bcnt_u32_b32 v4, v4, 0
	v_bcnt_u32_b32 v4, v5, v4
	s_waitcnt lgkmcnt(0)
	v_add_u32_e32 v4, v35, v4
	ds_write_b32 v36, v4 offset:16
.LBB15_35:
	s_or_b64 exec, exec, s[24:25]
	v_lshrrev_b32_e32 v4, s68, v13
	v_and_b32_e32 v5, s74, v4
	v_mul_lo_u32 v4, v5, 20
	v_and_b32_e32 v40, 1, v5
	; wave barrier
	v_lshl_add_u32 v39, v6, 2, v4
	v_add_co_u32_e64 v4, s[24:25], -1, v40
	v_addc_co_u32_e64 v41, s[24:25], 0, -1, s[24:25]
	v_cmp_ne_u32_e64 s[24:25], 0, v40
	v_xor_b32_e32 v4, s24, v4
	v_xor_b32_e32 v40, s25, v41
	v_and_b32_e32 v41, exec_lo, v4
	v_lshlrev_b32_e32 v4, 30, v5
	v_cmp_gt_i64_e64 s[24:25], 0, v[3:4]
	v_not_b32_e32 v4, v4
	v_ashrrev_i32_e32 v4, 31, v4
	v_xor_b32_e32 v42, s25, v4
	v_xor_b32_e32 v4, s24, v4
	v_and_b32_e32 v41, v41, v4
	v_lshlrev_b32_e32 v4, 29, v5
	v_cmp_gt_i64_e64 s[24:25], 0, v[3:4]
	v_not_b32_e32 v4, v4
	v_and_b32_e32 v40, exec_hi, v40
	v_ashrrev_i32_e32 v4, 31, v4
	v_and_b32_e32 v40, v40, v42
	v_xor_b32_e32 v42, s25, v4
	v_xor_b32_e32 v4, s24, v4
	v_and_b32_e32 v41, v41, v4
	v_lshlrev_b32_e32 v4, 28, v5
	v_cmp_gt_i64_e64 s[24:25], 0, v[3:4]
	v_not_b32_e32 v4, v4
	v_ashrrev_i32_e32 v4, 31, v4
	v_and_b32_e32 v40, v40, v42
	v_xor_b32_e32 v42, s25, v4
	v_xor_b32_e32 v4, s24, v4
	v_and_b32_e32 v41, v41, v4
	v_lshlrev_b32_e32 v4, 27, v5
	v_cmp_gt_i64_e64 s[24:25], 0, v[3:4]
	v_not_b32_e32 v4, v4
	;; [unrolled: 8-line block ×5, first 2 shown]
	v_ashrrev_i32_e32 v3, 31, v3
	v_xor_b32_e32 v4, s25, v3
	v_xor_b32_e32 v3, s24, v3
	ds_read_b32 v38, v39 offset:16
	v_and_b32_e32 v40, v40, v42
	v_and_b32_e32 v3, v41, v3
	;; [unrolled: 1-line block ×3, first 2 shown]
	v_mbcnt_lo_u32_b32 v5, v3, 0
	v_mbcnt_hi_u32_b32 v45, v4, v5
	v_cmp_ne_u64_e64 s[24:25], 0, v[3:4]
	v_cmp_eq_u32_e64 s[26:27], 0, v45
	s_and_b64 s[26:27], s[24:25], s[26:27]
	; wave barrier
	s_and_saveexec_b64 s[24:25], s[26:27]
	s_cbranch_execz .LBB15_37
; %bb.36:
	v_bcnt_u32_b32 v3, v3, 0
	v_bcnt_u32_b32 v3, v4, v3
	s_waitcnt lgkmcnt(0)
	v_add_u32_e32 v3, v38, v3
	ds_write_b32 v39, v3 offset:16
.LBB15_37:
	s_or_b64 exec, exec, s[24:25]
	v_lshrrev_b32_e32 v3, s68, v16
	v_and_b32_e32 v5, s74, v3
	v_and_b32_e32 v4, 1, v5
	v_mul_lo_u32 v3, v5, 20
	v_add_co_u32_e64 v41, s[24:25], -1, v4
	v_addc_co_u32_e64 v42, s[24:25], 0, -1, s[24:25]
	v_cmp_ne_u32_e64 s[24:25], 0, v4
	v_xor_b32_e32 v4, s25, v42
	v_lshl_add_u32 v40, v6, 2, v3
	v_mov_b32_e32 v3, 0
	v_and_b32_e32 v42, exec_hi, v4
	v_lshlrev_b32_e32 v4, 30, v5
	v_xor_b32_e32 v41, s24, v41
	v_cmp_gt_i64_e64 s[24:25], 0, v[3:4]
	v_not_b32_e32 v4, v4
	v_ashrrev_i32_e32 v4, 31, v4
	v_and_b32_e32 v41, exec_lo, v41
	v_xor_b32_e32 v43, s25, v4
	v_xor_b32_e32 v4, s24, v4
	v_and_b32_e32 v41, v41, v4
	v_lshlrev_b32_e32 v4, 29, v5
	v_cmp_gt_i64_e64 s[24:25], 0, v[3:4]
	v_not_b32_e32 v4, v4
	v_ashrrev_i32_e32 v4, 31, v4
	v_and_b32_e32 v42, v42, v43
	v_xor_b32_e32 v43, s25, v4
	v_xor_b32_e32 v4, s24, v4
	v_and_b32_e32 v41, v41, v4
	v_lshlrev_b32_e32 v4, 28, v5
	v_cmp_gt_i64_e64 s[24:25], 0, v[3:4]
	v_not_b32_e32 v4, v4
	v_ashrrev_i32_e32 v4, 31, v4
	v_and_b32_e32 v42, v42, v43
	;; [unrolled: 8-line block ×5, first 2 shown]
	v_xor_b32_e32 v43, s25, v4
	v_xor_b32_e32 v4, s24, v4
	v_and_b32_e32 v41, v41, v4
	v_lshlrev_b32_e32 v4, 24, v5
	v_cmp_gt_i64_e64 s[24:25], 0, v[3:4]
	v_not_b32_e32 v4, v4
	v_ashrrev_i32_e32 v4, 31, v4
	v_xor_b32_e32 v5, s25, v4
	v_xor_b32_e32 v4, s24, v4
	; wave barrier
	ds_read_b32 v46, v40 offset:16
	v_and_b32_e32 v42, v42, v43
	v_and_b32_e32 v4, v41, v4
	;; [unrolled: 1-line block ×3, first 2 shown]
	v_mbcnt_lo_u32_b32 v41, v4, 0
	v_mbcnt_hi_u32_b32 v47, v5, v41
	v_cmp_ne_u64_e64 s[24:25], 0, v[4:5]
	v_cmp_eq_u32_e64 s[26:27], 0, v47
	s_and_b64 s[26:27], s[24:25], s[26:27]
	; wave barrier
	s_and_saveexec_b64 s[24:25], s[26:27]
	s_cbranch_execz .LBB15_39
; %bb.38:
	v_bcnt_u32_b32 v4, v4, 0
	v_bcnt_u32_b32 v4, v5, v4
	s_waitcnt lgkmcnt(0)
	v_add_u32_e32 v4, v46, v4
	ds_write_b32 v40, v4 offset:16
.LBB15_39:
	s_or_b64 exec, exec, s[24:25]
	v_lshrrev_b32_e32 v4, s68, v15
	v_and_b32_e32 v5, s74, v4
	v_mul_lo_u32 v4, v5, 20
	v_and_b32_e32 v42, 1, v5
	; wave barrier
	v_lshl_add_u32 v41, v6, 2, v4
	v_add_co_u32_e64 v4, s[24:25], -1, v42
	v_addc_co_u32_e64 v43, s[24:25], 0, -1, s[24:25]
	v_cmp_ne_u32_e64 s[24:25], 0, v42
	v_xor_b32_e32 v4, s24, v4
	v_xor_b32_e32 v42, s25, v43
	v_and_b32_e32 v43, exec_lo, v4
	v_lshlrev_b32_e32 v4, 30, v5
	v_cmp_gt_i64_e64 s[24:25], 0, v[3:4]
	v_not_b32_e32 v4, v4
	v_ashrrev_i32_e32 v4, 31, v4
	v_xor_b32_e32 v44, s25, v4
	v_xor_b32_e32 v4, s24, v4
	v_and_b32_e32 v43, v43, v4
	v_lshlrev_b32_e32 v4, 29, v5
	v_cmp_gt_i64_e64 s[24:25], 0, v[3:4]
	v_not_b32_e32 v4, v4
	v_and_b32_e32 v42, exec_hi, v42
	v_ashrrev_i32_e32 v4, 31, v4
	v_and_b32_e32 v42, v42, v44
	v_xor_b32_e32 v44, s25, v4
	v_xor_b32_e32 v4, s24, v4
	v_and_b32_e32 v43, v43, v4
	v_lshlrev_b32_e32 v4, 28, v5
	v_cmp_gt_i64_e64 s[24:25], 0, v[3:4]
	v_not_b32_e32 v4, v4
	v_ashrrev_i32_e32 v4, 31, v4
	v_and_b32_e32 v42, v42, v44
	v_xor_b32_e32 v44, s25, v4
	v_xor_b32_e32 v4, s24, v4
	v_and_b32_e32 v43, v43, v4
	v_lshlrev_b32_e32 v4, 27, v5
	v_cmp_gt_i64_e64 s[24:25], 0, v[3:4]
	v_not_b32_e32 v4, v4
	;; [unrolled: 8-line block ×5, first 2 shown]
	v_ashrrev_i32_e32 v3, 31, v3
	v_xor_b32_e32 v4, s25, v3
	v_xor_b32_e32 v3, s24, v3
	ds_read_b32 v48, v41 offset:16
	v_and_b32_e32 v42, v42, v44
	v_and_b32_e32 v3, v43, v3
	;; [unrolled: 1-line block ×3, first 2 shown]
	v_mbcnt_lo_u32_b32 v5, v3, 0
	v_mbcnt_hi_u32_b32 v49, v4, v5
	v_cmp_ne_u64_e64 s[24:25], 0, v[3:4]
	v_cmp_eq_u32_e64 s[26:27], 0, v49
	s_and_b64 s[26:27], s[24:25], s[26:27]
	; wave barrier
	s_and_saveexec_b64 s[24:25], s[26:27]
	s_cbranch_execz .LBB15_41
; %bb.40:
	v_bcnt_u32_b32 v3, v3, 0
	v_bcnt_u32_b32 v3, v4, v3
	s_waitcnt lgkmcnt(0)
	v_add_u32_e32 v3, v48, v3
	ds_write_b32 v41, v3 offset:16
.LBB15_41:
	s_or_b64 exec, exec, s[24:25]
	v_lshrrev_b32_e32 v3, s68, v18
	v_and_b32_e32 v5, s74, v3
	v_and_b32_e32 v4, 1, v5
	v_mul_lo_u32 v3, v5, 20
	v_add_co_u32_e64 v43, s[24:25], -1, v4
	v_addc_co_u32_e64 v44, s[24:25], 0, -1, s[24:25]
	v_cmp_ne_u32_e64 s[24:25], 0, v4
	v_xor_b32_e32 v4, s25, v44
	v_lshl_add_u32 v42, v6, 2, v3
	v_mov_b32_e32 v3, 0
	v_and_b32_e32 v44, exec_hi, v4
	v_lshlrev_b32_e32 v4, 30, v5
	v_xor_b32_e32 v43, s24, v43
	v_cmp_gt_i64_e64 s[24:25], 0, v[3:4]
	v_not_b32_e32 v4, v4
	v_ashrrev_i32_e32 v4, 31, v4
	v_and_b32_e32 v43, exec_lo, v43
	v_xor_b32_e32 v51, s25, v4
	v_xor_b32_e32 v4, s24, v4
	v_and_b32_e32 v43, v43, v4
	v_lshlrev_b32_e32 v4, 29, v5
	v_cmp_gt_i64_e64 s[24:25], 0, v[3:4]
	v_not_b32_e32 v4, v4
	v_ashrrev_i32_e32 v4, 31, v4
	v_and_b32_e32 v44, v44, v51
	v_xor_b32_e32 v51, s25, v4
	v_xor_b32_e32 v4, s24, v4
	v_and_b32_e32 v43, v43, v4
	v_lshlrev_b32_e32 v4, 28, v5
	v_cmp_gt_i64_e64 s[24:25], 0, v[3:4]
	v_not_b32_e32 v4, v4
	v_ashrrev_i32_e32 v4, 31, v4
	v_and_b32_e32 v44, v44, v51
	v_xor_b32_e32 v51, s25, v4
	v_xor_b32_e32 v4, s24, v4
	v_and_b32_e32 v43, v43, v4
	v_lshlrev_b32_e32 v4, 27, v5
	v_cmp_gt_i64_e64 s[24:25], 0, v[3:4]
	v_not_b32_e32 v4, v4
	v_ashrrev_i32_e32 v4, 31, v4
	v_and_b32_e32 v44, v44, v51
	v_xor_b32_e32 v51, s25, v4
	v_xor_b32_e32 v4, s24, v4
	v_and_b32_e32 v43, v43, v4
	v_lshlrev_b32_e32 v4, 26, v5
	v_cmp_gt_i64_e64 s[24:25], 0, v[3:4]
	v_not_b32_e32 v4, v4
	v_ashrrev_i32_e32 v4, 31, v4
	v_and_b32_e32 v44, v44, v51
	v_xor_b32_e32 v51, s25, v4
	v_xor_b32_e32 v4, s24, v4
	v_and_b32_e32 v43, v43, v4
	v_lshlrev_b32_e32 v4, 25, v5
	v_cmp_gt_i64_e64 s[24:25], 0, v[3:4]
	v_not_b32_e32 v4, v4
	v_ashrrev_i32_e32 v4, 31, v4
	v_and_b32_e32 v44, v44, v51
	v_xor_b32_e32 v51, s25, v4
	v_xor_b32_e32 v4, s24, v4
	v_and_b32_e32 v43, v43, v4
	v_lshlrev_b32_e32 v4, 24, v5
	v_cmp_gt_i64_e64 s[24:25], 0, v[3:4]
	v_not_b32_e32 v4, v4
	v_ashrrev_i32_e32 v4, 31, v4
	v_xor_b32_e32 v5, s25, v4
	v_xor_b32_e32 v4, s24, v4
	; wave barrier
	ds_read_b32 v50, v42 offset:16
	v_and_b32_e32 v44, v44, v51
	v_and_b32_e32 v4, v43, v4
	;; [unrolled: 1-line block ×3, first 2 shown]
	v_mbcnt_lo_u32_b32 v43, v4, 0
	v_mbcnt_hi_u32_b32 v51, v5, v43
	v_cmp_ne_u64_e64 s[24:25], 0, v[4:5]
	v_cmp_eq_u32_e64 s[26:27], 0, v51
	s_and_b64 s[26:27], s[24:25], s[26:27]
	; wave barrier
	s_and_saveexec_b64 s[24:25], s[26:27]
	s_cbranch_execz .LBB15_43
; %bb.42:
	v_bcnt_u32_b32 v4, v4, 0
	v_bcnt_u32_b32 v4, v5, v4
	s_waitcnt lgkmcnt(0)
	v_add_u32_e32 v4, v50, v4
	ds_write_b32 v42, v4 offset:16
.LBB15_43:
	s_or_b64 exec, exec, s[24:25]
	v_lshrrev_b32_e32 v4, s68, v17
	v_and_b32_e32 v5, s74, v4
	v_mul_lo_u32 v4, v5, 20
	v_and_b32_e32 v44, 1, v5
	; wave barrier
	v_lshl_add_u32 v43, v6, 2, v4
	v_add_co_u32_e64 v4, s[24:25], -1, v44
	v_addc_co_u32_e64 v53, s[24:25], 0, -1, s[24:25]
	v_cmp_ne_u32_e64 s[24:25], 0, v44
	v_xor_b32_e32 v4, s24, v4
	v_xor_b32_e32 v44, s25, v53
	v_and_b32_e32 v53, exec_lo, v4
	v_lshlrev_b32_e32 v4, 30, v5
	v_cmp_gt_i64_e64 s[24:25], 0, v[3:4]
	v_not_b32_e32 v4, v4
	v_ashrrev_i32_e32 v4, 31, v4
	v_xor_b32_e32 v54, s25, v4
	v_xor_b32_e32 v4, s24, v4
	v_and_b32_e32 v53, v53, v4
	v_lshlrev_b32_e32 v4, 29, v5
	v_cmp_gt_i64_e64 s[24:25], 0, v[3:4]
	v_not_b32_e32 v4, v4
	v_and_b32_e32 v44, exec_hi, v44
	v_ashrrev_i32_e32 v4, 31, v4
	v_and_b32_e32 v44, v44, v54
	v_xor_b32_e32 v54, s25, v4
	v_xor_b32_e32 v4, s24, v4
	v_and_b32_e32 v53, v53, v4
	v_lshlrev_b32_e32 v4, 28, v5
	v_cmp_gt_i64_e64 s[24:25], 0, v[3:4]
	v_not_b32_e32 v4, v4
	v_ashrrev_i32_e32 v4, 31, v4
	v_and_b32_e32 v44, v44, v54
	v_xor_b32_e32 v54, s25, v4
	v_xor_b32_e32 v4, s24, v4
	v_and_b32_e32 v53, v53, v4
	v_lshlrev_b32_e32 v4, 27, v5
	v_cmp_gt_i64_e64 s[24:25], 0, v[3:4]
	v_not_b32_e32 v4, v4
	;; [unrolled: 8-line block ×5, first 2 shown]
	v_ashrrev_i32_e32 v3, 31, v3
	v_xor_b32_e32 v4, s25, v3
	v_xor_b32_e32 v3, s24, v3
	ds_read_b32 v52, v43 offset:16
	v_and_b32_e32 v44, v44, v54
	v_and_b32_e32 v3, v53, v3
	;; [unrolled: 1-line block ×3, first 2 shown]
	v_mbcnt_lo_u32_b32 v5, v3, 0
	v_mbcnt_hi_u32_b32 v53, v4, v5
	v_cmp_ne_u64_e64 s[24:25], 0, v[3:4]
	v_cmp_eq_u32_e64 s[26:27], 0, v53
	s_and_b64 s[26:27], s[24:25], s[26:27]
	; wave barrier
	s_and_saveexec_b64 s[24:25], s[26:27]
	s_cbranch_execz .LBB15_45
; %bb.44:
	v_bcnt_u32_b32 v3, v3, 0
	v_bcnt_u32_b32 v3, v4, v3
	s_waitcnt lgkmcnt(0)
	v_add_u32_e32 v3, v52, v3
	ds_write_b32 v43, v3 offset:16
.LBB15_45:
	s_or_b64 exec, exec, s[24:25]
	v_lshrrev_b32_e32 v3, s68, v21
	v_and_b32_e32 v5, s74, v3
	v_and_b32_e32 v4, 1, v5
	v_mul_lo_u32 v3, v5, 20
	v_add_co_u32_e64 v55, s[24:25], -1, v4
	v_addc_co_u32_e64 v56, s[24:25], 0, -1, s[24:25]
	v_cmp_ne_u32_e64 s[24:25], 0, v4
	v_xor_b32_e32 v4, s25, v56
	v_lshl_add_u32 v44, v6, 2, v3
	v_mov_b32_e32 v3, 0
	v_and_b32_e32 v56, exec_hi, v4
	v_lshlrev_b32_e32 v4, 30, v5
	v_xor_b32_e32 v55, s24, v55
	v_cmp_gt_i64_e64 s[24:25], 0, v[3:4]
	v_not_b32_e32 v4, v4
	v_ashrrev_i32_e32 v4, 31, v4
	v_and_b32_e32 v55, exec_lo, v55
	v_xor_b32_e32 v57, s25, v4
	v_xor_b32_e32 v4, s24, v4
	v_and_b32_e32 v55, v55, v4
	v_lshlrev_b32_e32 v4, 29, v5
	v_cmp_gt_i64_e64 s[24:25], 0, v[3:4]
	v_not_b32_e32 v4, v4
	v_ashrrev_i32_e32 v4, 31, v4
	v_and_b32_e32 v56, v56, v57
	v_xor_b32_e32 v57, s25, v4
	v_xor_b32_e32 v4, s24, v4
	v_and_b32_e32 v55, v55, v4
	v_lshlrev_b32_e32 v4, 28, v5
	v_cmp_gt_i64_e64 s[24:25], 0, v[3:4]
	v_not_b32_e32 v4, v4
	v_ashrrev_i32_e32 v4, 31, v4
	v_and_b32_e32 v56, v56, v57
	;; [unrolled: 8-line block ×5, first 2 shown]
	v_xor_b32_e32 v57, s25, v4
	v_xor_b32_e32 v4, s24, v4
	v_and_b32_e32 v55, v55, v4
	v_lshlrev_b32_e32 v4, 24, v5
	v_cmp_gt_i64_e64 s[24:25], 0, v[3:4]
	v_not_b32_e32 v4, v4
	v_ashrrev_i32_e32 v4, 31, v4
	v_xor_b32_e32 v5, s25, v4
	v_xor_b32_e32 v4, s24, v4
	; wave barrier
	ds_read_b32 v54, v44 offset:16
	v_and_b32_e32 v56, v56, v57
	v_and_b32_e32 v4, v55, v4
	;; [unrolled: 1-line block ×3, first 2 shown]
	v_mbcnt_lo_u32_b32 v55, v4, 0
	v_mbcnt_hi_u32_b32 v55, v5, v55
	v_cmp_ne_u64_e64 s[24:25], 0, v[4:5]
	v_cmp_eq_u32_e64 s[26:27], 0, v55
	s_and_b64 s[26:27], s[24:25], s[26:27]
	; wave barrier
	s_and_saveexec_b64 s[24:25], s[26:27]
	s_cbranch_execz .LBB15_47
; %bb.46:
	v_bcnt_u32_b32 v4, v4, 0
	v_bcnt_u32_b32 v4, v5, v4
	s_waitcnt lgkmcnt(0)
	v_add_u32_e32 v4, v54, v4
	ds_write_b32 v44, v4 offset:16
.LBB15_47:
	s_or_b64 exec, exec, s[24:25]
	v_lshrrev_b32_e32 v4, s68, v20
	v_and_b32_e32 v5, s74, v4
	v_mul_lo_u32 v4, v5, 20
	v_and_b32_e32 v58, 1, v5
	; wave barrier
	v_lshl_add_u32 v57, v6, 2, v4
	v_add_co_u32_e64 v4, s[24:25], -1, v58
	v_addc_co_u32_e64 v6, s[24:25], 0, -1, s[24:25]
	v_cmp_ne_u32_e64 s[24:25], 0, v58
	v_xor_b32_e32 v4, s24, v4
	v_and_b32_e32 v58, exec_lo, v4
	v_lshlrev_b32_e32 v4, 30, v5
	v_xor_b32_e32 v6, s25, v6
	v_cmp_gt_i64_e64 s[24:25], 0, v[3:4]
	v_not_b32_e32 v4, v4
	v_ashrrev_i32_e32 v4, 31, v4
	v_xor_b32_e32 v59, s25, v4
	v_xor_b32_e32 v4, s24, v4
	v_and_b32_e32 v58, v58, v4
	v_lshlrev_b32_e32 v4, 29, v5
	v_cmp_gt_i64_e64 s[24:25], 0, v[3:4]
	v_not_b32_e32 v4, v4
	v_and_b32_e32 v6, exec_hi, v6
	v_ashrrev_i32_e32 v4, 31, v4
	v_and_b32_e32 v6, v6, v59
	v_xor_b32_e32 v59, s25, v4
	v_xor_b32_e32 v4, s24, v4
	v_and_b32_e32 v58, v58, v4
	v_lshlrev_b32_e32 v4, 28, v5
	v_cmp_gt_i64_e64 s[24:25], 0, v[3:4]
	v_not_b32_e32 v4, v4
	v_ashrrev_i32_e32 v4, 31, v4
	v_and_b32_e32 v6, v6, v59
	v_xor_b32_e32 v59, s25, v4
	v_xor_b32_e32 v4, s24, v4
	v_and_b32_e32 v58, v58, v4
	v_lshlrev_b32_e32 v4, 27, v5
	v_cmp_gt_i64_e64 s[24:25], 0, v[3:4]
	v_not_b32_e32 v4, v4
	;; [unrolled: 8-line block ×5, first 2 shown]
	v_ashrrev_i32_e32 v3, 31, v3
	v_xor_b32_e32 v4, s25, v3
	v_xor_b32_e32 v3, s24, v3
	ds_read_b32 v56, v57 offset:16
	v_and_b32_e32 v6, v6, v59
	v_and_b32_e32 v3, v58, v3
	;; [unrolled: 1-line block ×3, first 2 shown]
	v_mbcnt_lo_u32_b32 v5, v3, 0
	v_mbcnt_hi_u32_b32 v58, v4, v5
	v_cmp_ne_u64_e64 s[24:25], 0, v[3:4]
	v_cmp_eq_u32_e64 s[26:27], 0, v58
	s_and_b64 s[26:27], s[24:25], s[26:27]
	; wave barrier
	s_and_saveexec_b64 s[24:25], s[26:27]
	s_cbranch_execz .LBB15_49
; %bb.48:
	v_bcnt_u32_b32 v3, v3, 0
	v_bcnt_u32_b32 v3, v4, v3
	s_waitcnt lgkmcnt(0)
	v_add_u32_e32 v3, v56, v3
	ds_write_b32 v57, v3 offset:16
.LBB15_49:
	s_or_b64 exec, exec, s[24:25]
	; wave barrier
	s_waitcnt lgkmcnt(0)
	s_barrier
	ds_read2_b32 v[5:6], v22 offset0:4 offset1:5
	ds_read2_b32 v[3:4], v22 offset0:6 offset1:7
	ds_read_b32 v59, v22 offset:32
	v_min_u32_e32 v19, 0xc0, v19
	v_or_b32_e32 v19, 63, v19
	s_waitcnt lgkmcnt(1)
	v_add3_u32 v60, v6, v5, v3
	s_waitcnt lgkmcnt(0)
	v_add3_u32 v59, v60, v4, v59
	v_and_b32_e32 v60, 15, v10
	v_cmp_ne_u32_e64 s[24:25], 0, v60
	v_mov_b32_dpp v61, v59 row_shr:1 row_mask:0xf bank_mask:0xf
	v_cndmask_b32_e64 v61, 0, v61, s[24:25]
	v_add_u32_e32 v59, v61, v59
	v_cmp_lt_u32_e64 s[24:25], 1, v60
	s_nop 0
	v_mov_b32_dpp v61, v59 row_shr:2 row_mask:0xf bank_mask:0xf
	v_cndmask_b32_e64 v61, 0, v61, s[24:25]
	v_add_u32_e32 v59, v59, v61
	v_cmp_lt_u32_e64 s[24:25], 3, v60
	s_nop 0
	;; [unrolled: 5-line block ×3, first 2 shown]
	v_mov_b32_dpp v61, v59 row_shr:8 row_mask:0xf bank_mask:0xf
	v_cndmask_b32_e64 v60, 0, v61, s[24:25]
	v_add_u32_e32 v59, v59, v60
	v_bfe_i32 v61, v10, 4, 1
	v_cmp_lt_u32_e64 s[24:25], 31, v10
	v_mov_b32_dpp v60, v59 row_bcast:15 row_mask:0xf bank_mask:0xf
	v_and_b32_e32 v60, v61, v60
	v_add_u32_e32 v59, v59, v60
	s_nop 1
	v_mov_b32_dpp v60, v59 row_bcast:31 row_mask:0xf bank_mask:0xf
	v_cndmask_b32_e64 v60, 0, v60, s[24:25]
	v_add_u32_e32 v59, v59, v60
	v_lshrrev_b32_e32 v60, 6, v0
	v_cmp_eq_u32_e64 s[24:25], v0, v19
	s_and_saveexec_b64 s[26:27], s[24:25]
; %bb.50:
	v_lshlrev_b32_e32 v19, 2, v60
	ds_write_b32 v19, v59
; %bb.51:
	s_or_b64 exec, exec, s[26:27]
	v_cmp_gt_u32_e64 s[24:25], 4, v0
	s_waitcnt lgkmcnt(0)
	s_barrier
	s_and_saveexec_b64 s[26:27], s[24:25]
	s_cbranch_execz .LBB15_53
; %bb.52:
	v_lshlrev_b32_e32 v19, 2, v0
	ds_read_b32 v61, v19
	v_and_b32_e32 v62, 3, v10
	v_cmp_ne_u32_e64 s[24:25], 0, v62
	s_waitcnt lgkmcnt(0)
	v_mov_b32_dpp v63, v61 row_shr:1 row_mask:0xf bank_mask:0xf
	v_cndmask_b32_e64 v63, 0, v63, s[24:25]
	v_add_u32_e32 v61, v63, v61
	v_cmp_lt_u32_e64 s[24:25], 1, v62
	s_nop 0
	v_mov_b32_dpp v63, v61 row_shr:2 row_mask:0xf bank_mask:0xf
	v_cndmask_b32_e64 v62, 0, v63, s[24:25]
	v_add_u32_e32 v61, v61, v62
	ds_write_b32 v19, v61
.LBB15_53:
	s_or_b64 exec, exec, s[26:27]
	v_cmp_lt_u32_e64 s[24:25], 63, v0
	v_mov_b32_e32 v19, 0
	s_waitcnt lgkmcnt(0)
	s_barrier
	s_and_saveexec_b64 s[26:27], s[24:25]
; %bb.54:
	v_lshl_add_u32 v19, v60, 2, -4
	ds_read_b32 v19, v19
; %bb.55:
	s_or_b64 exec, exec, s[26:27]
	v_add_u32_e32 v60, -1, v10
	v_and_b32_e32 v61, 64, v10
	v_cmp_lt_i32_e64 s[24:25], v60, v61
	v_cndmask_b32_e64 v60, v60, v10, s[24:25]
	s_waitcnt lgkmcnt(0)
	v_add_u32_e32 v59, v19, v59
	v_lshlrev_b32_e32 v60, 2, v60
	ds_bpermute_b32 v59, v60, v59
	v_cmp_eq_u32_e64 s[24:25], 0, v10
	s_waitcnt lgkmcnt(0)
	v_cndmask_b32_e64 v19, v59, v19, s[24:25]
	v_cmp_ne_u32_e64 s[24:25], 0, v0
	v_cndmask_b32_e64 v19, 0, v19, s[24:25]
	v_add_u32_e32 v5, v19, v5
	v_add_u32_e32 v6, v5, v6
	;; [unrolled: 1-line block ×4, first 2 shown]
	ds_write2_b32 v22, v19, v5 offset0:4 offset1:5
	ds_write2_b32 v22, v6, v3 offset0:6 offset1:7
	ds_write_b32 v22, v4 offset:32
	s_waitcnt lgkmcnt(0)
	s_barrier
	ds_read_b32 v4, v41 offset:16
	ds_read_b32 v5, v42 offset:16
	;; [unrolled: 1-line block ×13, first 2 shown]
	v_add_u32_e32 v22, 1, v0
	s_movk_i32 s24, 0x100
	v_cmp_ne_u32_e64 s[24:25], s24, v22
	v_mov_b32_e32 v3, 0xc00
	s_and_saveexec_b64 s[26:27], s[24:25]
; %bb.56:
	v_mul_u32_u24_e32 v3, 20, v22
	ds_read_b32 v3, v3 offset:16
; %bb.57:
	s_or_b64 exec, exec, s[26:27]
	s_waitcnt lgkmcnt(7)
	v_add_u32_e32 v44, v24, v23
	s_waitcnt lgkmcnt(6)
	v_add3_u32 v43, v27, v25, v26
	s_waitcnt lgkmcnt(3)
	v_add3_u32 v40, v37, v35, v36
	v_add3_u32 v37, v49, v48, v4
	v_lshlrev_b32_e32 v4, 2, v44
	v_add3_u32 v42, v31, v28, v41
	s_waitcnt lgkmcnt(0)
	s_barrier
	ds_write_b32 v4, v8 offset:2048
	v_lshlrev_b32_e32 v4, 2, v43
	v_add3_u32 v41, v34, v32, v33
	ds_write_b32 v4, v7 offset:2048
	v_lshlrev_b32_e32 v4, 2, v42
	ds_write_b32 v4, v12 offset:2048
	v_lshlrev_b32_e32 v4, 2, v41
	v_add3_u32 v39, v45, v38, v39
	ds_write_b32 v4, v11 offset:2048
	v_lshlrev_b32_e32 v4, 2, v40
	v_add3_u32 v38, v47, v46, v59
	ds_write_b32 v4, v14 offset:2048
	v_lshlrev_b32_e32 v4, 2, v39
	ds_write_b32 v4, v13 offset:2048
	v_lshlrev_b32_e32 v4, 2, v38
	v_add3_u32 v36, v51, v50, v5
	ds_write_b32 v4, v16 offset:2048
	v_lshlrev_b32_e32 v4, 2, v37
	v_add3_u32 v35, v53, v52, v6
	;; [unrolled: 3-line block ×4, first 2 shown]
	ds_write_b32 v4, v17 offset:2048
	v_lshlrev_b32_e32 v4, 2, v34
	ds_write_b32 v4, v21 offset:2048
	v_lshlrev_b32_e32 v4, 2, v33
	ds_write_b32 v4, v20 offset:2048
	v_sub_u32_e32 v31, v3, v30
	v_lshl_or_b32 v3, s6, 8, v0
	v_mov_b32_e32 v4, 0
	v_lshlrev_b64 v[5:6], 2, v[3:4]
	v_mov_b32_e32 v11, s73
	v_add_co_u32_e64 v5, s[24:25], s72, v5
	v_addc_co_u32_e64 v6, s[24:25], v11, v6, s[24:25]
	v_or_b32_e32 v3, 2.0, v31
	s_mov_b64 s[26:27], 0
	s_brev_b32 s34, -4
	s_mov_b32 s35, s7
	v_mov_b32_e32 v12, 0
	s_waitcnt lgkmcnt(0)
	s_barrier
	global_store_dword v[5:6], v3, off
                                        ; implicit-def: $sgpr24_sgpr25
	s_branch .LBB15_60
.LBB15_58:                              ;   in Loop: Header=BB15_60 Depth=1
	s_or_b64 exec, exec, s[30:31]
.LBB15_59:                              ;   in Loop: Header=BB15_60 Depth=1
	s_or_b64 exec, exec, s[28:29]
	v_and_b32_e32 v7, 0x3fffffff, v3
	v_add_u32_e32 v12, v7, v12
	v_cmp_gt_i32_e64 s[24:25], -2.0, v3
	s_and_b64 s[28:29], exec, s[24:25]
	s_or_b64 s[26:27], s[28:29], s[26:27]
	s_andn2_b64 exec, exec, s[26:27]
	s_cbranch_execz .LBB15_65
.LBB15_60:                              ; =>This Loop Header: Depth=1
                                        ;     Child Loop BB15_63 Depth 2
	s_or_b64 s[24:25], s[24:25], exec
	s_cmp_eq_u32 s35, 0
	s_cbranch_scc1 .LBB15_64
; %bb.61:                               ;   in Loop: Header=BB15_60 Depth=1
	s_add_i32 s35, s35, -1
	v_lshl_or_b32 v3, s35, 8, v0
	v_lshlrev_b64 v[7:8], 2, v[3:4]
	v_add_co_u32_e64 v7, s[24:25], s72, v7
	v_addc_co_u32_e64 v8, s[24:25], v11, v8, s[24:25]
	global_load_dword v3, v[7:8], off glc
	s_waitcnt vmcnt(0)
	v_cmp_gt_u32_e64 s[24:25], 2.0, v3
	s_and_saveexec_b64 s[28:29], s[24:25]
	s_cbranch_execz .LBB15_59
; %bb.62:                               ;   in Loop: Header=BB15_60 Depth=1
	s_mov_b64 s[30:31], 0
.LBB15_63:                              ;   Parent Loop BB15_60 Depth=1
                                        ; =>  This Inner Loop Header: Depth=2
	global_load_dword v3, v[7:8], off glc
	s_waitcnt vmcnt(0)
	v_cmp_lt_u32_e64 s[24:25], s34, v3
	s_or_b64 s[30:31], s[24:25], s[30:31]
	s_andn2_b64 exec, exec, s[30:31]
	s_cbranch_execnz .LBB15_63
	s_branch .LBB15_58
.LBB15_64:                              ;   in Loop: Header=BB15_60 Depth=1
                                        ; implicit-def: $sgpr35
	s_and_b64 s[28:29], exec, s[24:25]
	s_or_b64 s[26:27], s[28:29], s[26:27]
	s_andn2_b64 exec, exec, s[26:27]
	s_cbranch_execnz .LBB15_60
.LBB15_65:
	s_or_b64 exec, exec, s[26:27]
	v_add_u32_e32 v3, v12, v31
	v_or_b32_e32 v3, 0x80000000, v3
	v_lshlrev_b32_e32 v32, 3, v0
	global_store_dword v[5:6], v3, off
	global_load_dwordx2 v[3:4], v32, s[64:65]
	v_sub_co_u32_e64 v5, s[24:25], v12, v30
	v_subb_co_u32_e64 v6, s[24:25], 0, 0, s[24:25]
	s_waitcnt vmcnt(0)
	v_add_co_u32_e64 v3, s[24:25], v5, v3
	v_addc_co_u32_e64 v4, s[24:25], v6, v4, s[24:25]
	v_cmp_gt_u32_e64 s[24:25], s70, v0
	ds_write_b64 v32, v[3:4]
	s_waitcnt lgkmcnt(0)
	s_barrier
	s_and_saveexec_b64 s[28:29], s[24:25]
	s_cbranch_execz .LBB15_67
; %bb.66:
	v_lshlrev_b32_e32 v5, 2, v0
	v_sub_u32_e32 v3, v32, v5
	ds_read_b32 v6, v3 offset:2048
	v_mov_b32_e32 v7, s59
	s_waitcnt lgkmcnt(0)
	v_lshrrev_b32_e32 v3, s68, v6
	v_and_b32_e32 v3, s74, v3
	v_lshlrev_b32_e32 v3, 3, v3
	ds_read_b64 v[3:4], v3
	v_not_b32_e32 v6, v6
	s_waitcnt lgkmcnt(0)
	v_lshlrev_b64 v[3:4], 2, v[3:4]
	v_add_co_u32_e64 v3, s[26:27], s58, v3
	v_addc_co_u32_e64 v4, s[26:27], v7, v4, s[26:27]
	v_add_co_u32_e64 v3, s[26:27], v3, v5
	v_addc_co_u32_e64 v4, s[26:27], 0, v4, s[26:27]
	global_store_dword v[3:4], v6, off
.LBB15_67:
	s_or_b64 exec, exec, s[28:29]
	v_or_b32_e32 v3, 0x100, v0
	v_cmp_gt_u32_e64 s[26:27], s70, v3
	s_and_saveexec_b64 s[30:31], s[26:27]
	s_cbranch_execz .LBB15_69
; %bb.68:
	v_lshlrev_b32_e32 v5, 2, v0
	v_sub_u32_e32 v3, v32, v5
	ds_read_b32 v6, v3 offset:3072
	v_mov_b32_e32 v7, s59
	s_waitcnt lgkmcnt(0)
	v_lshrrev_b32_e32 v3, s68, v6
	v_and_b32_e32 v3, s74, v3
	v_lshlrev_b32_e32 v3, 3, v3
	ds_read_b64 v[3:4], v3
	v_not_b32_e32 v6, v6
	s_waitcnt lgkmcnt(0)
	v_lshlrev_b64 v[3:4], 2, v[3:4]
	v_add_co_u32_e64 v3, s[28:29], s58, v3
	v_addc_co_u32_e64 v4, s[28:29], v7, v4, s[28:29]
	v_add_co_u32_e64 v3, s[28:29], v3, v5
	v_addc_co_u32_e64 v4, s[28:29], 0, v4, s[28:29]
	global_store_dword v[3:4], v6, off offset:1024
.LBB15_69:
	s_or_b64 exec, exec, s[30:31]
	v_or_b32_e32 v45, 0x200, v0
	v_cmp_gt_u32_e64 s[28:29], s70, v45
	s_and_saveexec_b64 s[34:35], s[28:29]
	s_cbranch_execz .LBB15_71
; %bb.70:
	v_lshlrev_b32_e32 v5, 2, v0
	v_sub_u32_e32 v3, v32, v5
	ds_read_b32 v6, v3 offset:4096
	v_mov_b32_e32 v7, s59
	s_waitcnt lgkmcnt(0)
	v_lshrrev_b32_e32 v3, s68, v6
	v_and_b32_e32 v3, s74, v3
	v_lshlrev_b32_e32 v3, 3, v3
	ds_read_b64 v[3:4], v3
	v_not_b32_e32 v6, v6
	s_waitcnt lgkmcnt(0)
	v_lshlrev_b64 v[3:4], 2, v[3:4]
	v_add_co_u32_e64 v3, s[30:31], s58, v3
	v_addc_co_u32_e64 v4, s[30:31], v7, v4, s[30:31]
	v_add_co_u32_e64 v3, s[30:31], v3, v5
	v_addc_co_u32_e64 v4, s[30:31], 0, v4, s[30:31]
	global_store_dword v[3:4], v6, off offset:2048
.LBB15_71:
	;; [unrolled: 24-line block ×3, first 2 shown]
	s_or_b64 exec, exec, s[36:37]
	v_or_b32_e32 v47, 0x400, v0
	v_cmp_gt_u32_e64 s[34:35], s70, v47
	s_and_saveexec_b64 s[38:39], s[34:35]
	s_cbranch_execz .LBB15_75
; %bb.74:
	v_lshlrev_b32_e32 v3, 2, v0
	v_sub_u32_e32 v3, v32, v3
	ds_read_b32 v5, v3 offset:6144
	v_mov_b32_e32 v6, s59
	v_lshlrev_b32_e32 v7, 2, v47
	s_waitcnt lgkmcnt(0)
	v_lshrrev_b32_e32 v3, s68, v5
	v_and_b32_e32 v3, s74, v3
	v_lshlrev_b32_e32 v3, 3, v3
	ds_read_b64 v[3:4], v3
	v_not_b32_e32 v5, v5
	s_waitcnt lgkmcnt(0)
	v_lshlrev_b64 v[3:4], 2, v[3:4]
	v_add_co_u32_e64 v3, s[36:37], s58, v3
	v_addc_co_u32_e64 v4, s[36:37], v6, v4, s[36:37]
	v_add_co_u32_e64 v3, s[36:37], v3, v7
	v_addc_co_u32_e64 v4, s[36:37], 0, v4, s[36:37]
	global_store_dword v[3:4], v5, off
.LBB15_75:
	s_or_b64 exec, exec, s[38:39]
	v_or_b32_e32 v48, 0x500, v0
	v_cmp_gt_u32_e64 s[36:37], s70, v48
	s_and_saveexec_b64 s[40:41], s[36:37]
	s_cbranch_execz .LBB15_77
; %bb.76:
	v_lshlrev_b32_e32 v3, 2, v0
	v_sub_u32_e32 v3, v32, v3
	ds_read_b32 v5, v3 offset:7168
	v_mov_b32_e32 v6, s59
	v_lshlrev_b32_e32 v7, 2, v48
	s_waitcnt lgkmcnt(0)
	v_lshrrev_b32_e32 v3, s68, v5
	v_and_b32_e32 v3, s74, v3
	v_lshlrev_b32_e32 v3, 3, v3
	ds_read_b64 v[3:4], v3
	v_not_b32_e32 v5, v5
	s_waitcnt lgkmcnt(0)
	v_lshlrev_b64 v[3:4], 2, v[3:4]
	v_add_co_u32_e64 v3, s[38:39], s58, v3
	v_addc_co_u32_e64 v4, s[38:39], v6, v4, s[38:39]
	v_add_co_u32_e64 v3, s[38:39], v3, v7
	v_addc_co_u32_e64 v4, s[38:39], 0, v4, s[38:39]
	global_store_dword v[3:4], v5, off
.LBB15_77:
	;; [unrolled: 25-line block ×3, first 2 shown]
	s_or_b64 exec, exec, s[42:43]
	v_or_b32_e32 v50, 0x700, v0
	v_cmp_gt_u32_e64 s[40:41], s70, v50
	s_and_saveexec_b64 s[44:45], s[40:41]
	s_cbranch_execz .LBB15_81
; %bb.80:
	v_lshlrev_b32_e32 v3, 2, v0
	ds_read_b32 v5, v3 offset:9216
	v_mov_b32_e32 v6, s59
	v_lshlrev_b32_e32 v7, 2, v50
	s_waitcnt lgkmcnt(0)
	v_lshrrev_b32_e32 v3, s68, v5
	v_and_b32_e32 v3, s74, v3
	v_lshlrev_b32_e32 v3, 3, v3
	ds_read_b64 v[3:4], v3
	v_not_b32_e32 v5, v5
	s_waitcnt lgkmcnt(0)
	v_lshlrev_b64 v[3:4], 2, v[3:4]
	v_add_co_u32_e64 v3, s[42:43], s58, v3
	v_addc_co_u32_e64 v4, s[42:43], v6, v4, s[42:43]
	v_add_co_u32_e64 v3, s[42:43], v3, v7
	v_addc_co_u32_e64 v4, s[42:43], 0, v4, s[42:43]
	global_store_dword v[3:4], v5, off
.LBB15_81:
	s_or_b64 exec, exec, s[44:45]
	v_or_b32_e32 v51, 0x800, v0
	v_cmp_gt_u32_e64 s[42:43], s70, v51
	s_and_saveexec_b64 s[46:47], s[42:43]
	s_cbranch_execz .LBB15_83
; %bb.82:
	v_lshlrev_b32_e32 v3, 2, v0
	ds_read_b32 v5, v3 offset:10240
	v_mov_b32_e32 v6, s59
	v_lshlrev_b32_e32 v7, 2, v51
	s_waitcnt lgkmcnt(0)
	v_lshrrev_b32_e32 v3, s68, v5
	v_and_b32_e32 v3, s74, v3
	v_lshlrev_b32_e32 v3, 3, v3
	ds_read_b64 v[3:4], v3
	v_not_b32_e32 v5, v5
	s_waitcnt lgkmcnt(0)
	v_lshlrev_b64 v[3:4], 2, v[3:4]
	v_add_co_u32_e64 v3, s[44:45], s58, v3
	v_addc_co_u32_e64 v4, s[44:45], v6, v4, s[44:45]
	v_add_co_u32_e64 v3, s[44:45], v3, v7
	v_addc_co_u32_e64 v4, s[44:45], 0, v4, s[44:45]
	global_store_dword v[3:4], v5, off
.LBB15_83:
	;; [unrolled: 24-line block ×5, first 2 shown]
	s_or_b64 exec, exec, s[70:71]
	s_lshl_b64 s[52:53], s[54:55], 3
	s_add_u32 s52, s60, s52
	s_addc_u32 s53, s61, s53
	v_lshlrev_b32_e32 v3, 3, v10
	v_mov_b32_e32 v4, s53
	v_add_co_u32_e64 v3, s[52:53], s52, v3
	v_addc_co_u32_e64 v4, s[52:53], 0, v4, s[52:53]
	v_lshlrev_b32_e32 v5, 3, v9
	v_add_co_u32_e64 v27, s[52:53], v3, v5
	v_addc_co_u32_e64 v28, s[52:53], 0, v4, s[52:53]
                                        ; implicit-def: $vgpr3_vgpr4
	s_and_saveexec_b64 s[52:53], vcc
	s_xor_b64 s[52:53], exec, s[52:53]
	s_cbranch_execz .LBB15_101
; %bb.90:
	global_load_dwordx2 v[3:4], v[27:28], off
	s_or_b64 exec, exec, s[52:53]
                                        ; implicit-def: $vgpr5_vgpr6
	s_and_saveexec_b64 s[52:53], s[0:1]
	s_cbranch_execnz .LBB15_102
.LBB15_91:
	s_or_b64 exec, exec, s[52:53]
                                        ; implicit-def: $vgpr7_vgpr8
	s_and_saveexec_b64 s[0:1], s[2:3]
	s_cbranch_execz .LBB15_103
.LBB15_92:
	global_load_dwordx2 v[7:8], v[27:28], off offset:1024
	s_or_b64 exec, exec, s[0:1]
                                        ; implicit-def: $vgpr9_vgpr10
	s_and_saveexec_b64 s[0:1], s[50:51]
	s_cbranch_execnz .LBB15_104
.LBB15_93:
	s_or_b64 exec, exec, s[0:1]
                                        ; implicit-def: $vgpr11_vgpr12
	s_and_saveexec_b64 s[0:1], s[8:9]
	s_cbranch_execz .LBB15_105
.LBB15_94:
	global_load_dwordx2 v[11:12], v[27:28], off offset:2048
	s_or_b64 exec, exec, s[0:1]
                                        ; implicit-def: $vgpr13_vgpr14
	s_and_saveexec_b64 s[0:1], s[10:11]
	s_cbranch_execnz .LBB15_106
.LBB15_95:
	s_or_b64 exec, exec, s[0:1]
                                        ; implicit-def: $vgpr15_vgpr16
	s_and_saveexec_b64 s[0:1], s[12:13]
	s_cbranch_execz .LBB15_107
.LBB15_96:
	global_load_dwordx2 v[15:16], v[27:28], off offset:3072
	s_or_b64 exec, exec, s[0:1]
                                        ; implicit-def: $vgpr17_vgpr18
	s_and_saveexec_b64 s[0:1], s[18:19]
	s_cbranch_execnz .LBB15_108
.LBB15_97:
	s_or_b64 exec, exec, s[0:1]
                                        ; implicit-def: $vgpr19_vgpr20
	s_and_saveexec_b64 s[0:1], s[22:23]
	s_cbranch_execz .LBB15_109
.LBB15_98:
	v_add_co_u32_e32 v19, vcc, 0x1000, v27
	v_addc_co_u32_e32 v20, vcc, 0, v28, vcc
	global_load_dwordx2 v[19:20], v[19:20], off
	s_or_b64 exec, exec, s[0:1]
                                        ; implicit-def: $vgpr21_vgpr22
	s_and_saveexec_b64 s[0:1], s[20:21]
	s_cbranch_execnz .LBB15_110
.LBB15_99:
	s_or_b64 exec, exec, s[0:1]
                                        ; implicit-def: $vgpr23_vgpr24
	s_and_saveexec_b64 s[0:1], s[16:17]
	s_cbranch_execz .LBB15_111
.LBB15_100:
	v_add_co_u32_e32 v23, vcc, 0x1000, v27
	v_addc_co_u32_e32 v24, vcc, 0, v28, vcc
	global_load_dwordx2 v[23:24], v[23:24], off offset:1024
	s_or_b64 exec, exec, s[0:1]
                                        ; implicit-def: $vgpr25_vgpr26
	s_and_saveexec_b64 s[0:1], s[14:15]
	s_cbranch_execnz .LBB15_112
	s_branch .LBB15_113
.LBB15_101:
	s_or_b64 exec, exec, s[52:53]
                                        ; implicit-def: $vgpr5_vgpr6
	s_and_saveexec_b64 s[52:53], s[0:1]
	s_cbranch_execz .LBB15_91
.LBB15_102:
	global_load_dwordx2 v[5:6], v[27:28], off offset:512
	s_or_b64 exec, exec, s[52:53]
                                        ; implicit-def: $vgpr7_vgpr8
	s_and_saveexec_b64 s[0:1], s[2:3]
	s_cbranch_execnz .LBB15_92
.LBB15_103:
	s_or_b64 exec, exec, s[0:1]
                                        ; implicit-def: $vgpr9_vgpr10
	s_and_saveexec_b64 s[0:1], s[50:51]
	s_cbranch_execz .LBB15_93
.LBB15_104:
	global_load_dwordx2 v[9:10], v[27:28], off offset:1536
	s_or_b64 exec, exec, s[0:1]
                                        ; implicit-def: $vgpr11_vgpr12
	s_and_saveexec_b64 s[0:1], s[8:9]
	s_cbranch_execnz .LBB15_94
.LBB15_105:
	s_or_b64 exec, exec, s[0:1]
                                        ; implicit-def: $vgpr13_vgpr14
	s_and_saveexec_b64 s[0:1], s[10:11]
	s_cbranch_execz .LBB15_95
.LBB15_106:
	global_load_dwordx2 v[13:14], v[27:28], off offset:2560
	s_or_b64 exec, exec, s[0:1]
                                        ; implicit-def: $vgpr15_vgpr16
	s_and_saveexec_b64 s[0:1], s[12:13]
	s_cbranch_execnz .LBB15_96
.LBB15_107:
	s_or_b64 exec, exec, s[0:1]
                                        ; implicit-def: $vgpr17_vgpr18
	s_and_saveexec_b64 s[0:1], s[18:19]
	s_cbranch_execz .LBB15_97
.LBB15_108:
	global_load_dwordx2 v[17:18], v[27:28], off offset:3584
	s_or_b64 exec, exec, s[0:1]
                                        ; implicit-def: $vgpr19_vgpr20
	s_and_saveexec_b64 s[0:1], s[22:23]
	s_cbranch_execnz .LBB15_98
.LBB15_109:
	s_or_b64 exec, exec, s[0:1]
                                        ; implicit-def: $vgpr21_vgpr22
	s_and_saveexec_b64 s[0:1], s[20:21]
	s_cbranch_execz .LBB15_99
.LBB15_110:
	v_add_co_u32_e32 v21, vcc, 0x1000, v27
	v_addc_co_u32_e32 v22, vcc, 0, v28, vcc
	global_load_dwordx2 v[21:22], v[21:22], off offset:512
	s_or_b64 exec, exec, s[0:1]
                                        ; implicit-def: $vgpr23_vgpr24
	s_and_saveexec_b64 s[0:1], s[16:17]
	s_cbranch_execnz .LBB15_100
.LBB15_111:
	s_or_b64 exec, exec, s[0:1]
                                        ; implicit-def: $vgpr25_vgpr26
	s_and_saveexec_b64 s[0:1], s[14:15]
	s_cbranch_execz .LBB15_113
.LBB15_112:
	v_add_co_u32_e32 v25, vcc, 0x1000, v27
	v_addc_co_u32_e32 v26, vcc, 0, v28, vcc
	global_load_dwordx2 v[25:26], v[25:26], off offset:1536
.LBB15_113:
	s_or_b64 exec, exec, s[0:1]
	v_mov_b32_e32 v62, 0
	v_mov_b32_e32 v64, 0
	s_and_saveexec_b64 s[0:1], s[24:25]
	s_cbranch_execz .LBB15_115
; %bb.114:
	v_lshlrev_b32_e32 v27, 2, v0
	ds_read_b32 v27, v27 offset:2048
	s_waitcnt lgkmcnt(0)
	v_lshrrev_b32_e32 v27, s68, v27
	v_and_b32_e32 v64, s74, v27
.LBB15_115:
	s_or_b64 exec, exec, s[0:1]
	s_and_saveexec_b64 s[0:1], s[26:27]
	s_cbranch_execz .LBB15_117
; %bb.116:
	v_lshlrev_b32_e32 v27, 2, v0
	ds_read_b32 v27, v27 offset:3072
	s_waitcnt lgkmcnt(0)
	v_lshrrev_b32_e32 v27, s68, v27
	v_and_b32_e32 v62, s74, v27
.LBB15_117:
	s_or_b64 exec, exec, s[0:1]
	v_mov_b32_e32 v60, 0
	v_mov_b32_e32 v63, 0
	s_and_saveexec_b64 s[0:1], s[28:29]
	s_cbranch_execz .LBB15_119
; %bb.118:
	v_lshlrev_b32_e32 v27, 2, v0
	ds_read_b32 v27, v27 offset:4096
	s_waitcnt lgkmcnt(0)
	v_lshrrev_b32_e32 v27, s68, v27
	v_and_b32_e32 v63, s74, v27
.LBB15_119:
	s_or_b64 exec, exec, s[0:1]
	s_and_saveexec_b64 s[0:1], s[30:31]
	s_cbranch_execz .LBB15_121
; %bb.120:
	v_lshlrev_b32_e32 v27, 2, v0
	ds_read_b32 v27, v27 offset:5120
	s_waitcnt lgkmcnt(0)
	v_lshrrev_b32_e32 v27, s68, v27
	v_and_b32_e32 v60, s74, v27
.LBB15_121:
	;; [unrolled: 22-line block ×6, first 2 shown]
	s_or_b64 exec, exec, s[0:1]
	v_lshlrev_b32_e32 v44, 3, v44
	s_waitcnt vmcnt(0)
	s_barrier
	ds_write_b64 v44, v[3:4] offset:2048
	v_lshlrev_b32_e32 v3, 3, v43
	ds_write_b64 v3, v[5:6] offset:2048
	v_lshlrev_b32_e32 v3, 3, v42
	;; [unrolled: 2-line block ×11, first 2 shown]
	ds_write_b64 v3, v[25:26] offset:2048
	s_waitcnt lgkmcnt(0)
	s_barrier
	s_and_saveexec_b64 s[0:1], s[24:25]
	s_cbranch_execz .LBB15_196
; %bb.138:
	v_lshlrev_b32_e32 v3, 3, v64
	ds_read_b64 v[3:4], v3
	ds_read_b64 v[5:6], v32 offset:2048
	v_mov_b32_e32 v7, s63
	s_waitcnt lgkmcnt(1)
	v_lshlrev_b64 v[3:4], 3, v[3:4]
	v_add_co_u32_e32 v3, vcc, s62, v3
	v_addc_co_u32_e32 v4, vcc, v7, v4, vcc
	v_add_co_u32_e32 v3, vcc, v3, v32
	v_addc_co_u32_e32 v4, vcc, 0, v4, vcc
	s_waitcnt lgkmcnt(0)
	global_store_dwordx2 v[3:4], v[5:6], off
	s_or_b64 exec, exec, s[0:1]
	s_and_saveexec_b64 s[0:1], s[26:27]
	s_cbranch_execnz .LBB15_197
.LBB15_139:
	s_or_b64 exec, exec, s[0:1]
	s_and_saveexec_b64 s[0:1], s[28:29]
	s_cbranch_execz .LBB15_198
.LBB15_140:
	v_lshlrev_b32_e32 v3, 3, v63
	ds_read_b64 v[3:4], v3
	ds_read_b64 v[5:6], v32 offset:6144
	v_mov_b32_e32 v7, s63
	s_waitcnt lgkmcnt(1)
	v_lshlrev_b64 v[3:4], 3, v[3:4]
	v_add_co_u32_e32 v3, vcc, s62, v3
	v_addc_co_u32_e32 v4, vcc, v7, v4, vcc
	v_lshlrev_b32_e32 v7, 3, v45
	v_add_co_u32_e32 v3, vcc, v3, v7
	v_addc_co_u32_e32 v4, vcc, 0, v4, vcc
	s_waitcnt lgkmcnt(0)
	global_store_dwordx2 v[3:4], v[5:6], off
	s_or_b64 exec, exec, s[0:1]
	s_and_saveexec_b64 s[0:1], s[30:31]
	s_cbranch_execnz .LBB15_199
.LBB15_141:
	s_or_b64 exec, exec, s[0:1]
	s_and_saveexec_b64 s[0:1], s[34:35]
	s_cbranch_execz .LBB15_200
.LBB15_142:
	v_lshlrev_b32_e32 v3, 3, v61
	ds_read_b64 v[3:4], v3
	ds_read_b64 v[5:6], v32 offset:10240
	v_mov_b32_e32 v7, s63
	s_waitcnt lgkmcnt(1)
	v_lshlrev_b64 v[3:4], 3, v[3:4]
	v_add_co_u32_e32 v3, vcc, s62, v3
	v_addc_co_u32_e32 v4, vcc, v7, v4, vcc
	v_lshlrev_b32_e32 v7, 3, v47
	v_add_co_u32_e32 v3, vcc, v3, v7
	v_addc_co_u32_e32 v4, vcc, 0, v4, vcc
	s_waitcnt lgkmcnt(0)
	global_store_dwordx2 v[3:4], v[5:6], off
	s_or_b64 exec, exec, s[0:1]
	s_and_saveexec_b64 s[0:1], s[36:37]
	s_cbranch_execnz .LBB15_201
.LBB15_143:
	s_or_b64 exec, exec, s[0:1]
	s_and_saveexec_b64 s[0:1], s[38:39]
	s_cbranch_execz .LBB15_202
.LBB15_144:
	v_lshlrev_b32_e32 v3, 3, v59
	ds_read_b64 v[3:4], v3
	ds_read_b64 v[5:6], v32 offset:14336
	v_mov_b32_e32 v7, s63
	s_waitcnt lgkmcnt(1)
	v_lshlrev_b64 v[3:4], 3, v[3:4]
	v_add_co_u32_e32 v3, vcc, s62, v3
	v_addc_co_u32_e32 v4, vcc, v7, v4, vcc
	v_lshlrev_b32_e32 v7, 3, v49
	v_add_co_u32_e32 v3, vcc, v3, v7
	v_addc_co_u32_e32 v4, vcc, 0, v4, vcc
	s_waitcnt lgkmcnt(0)
	global_store_dwordx2 v[3:4], v[5:6], off
	s_or_b64 exec, exec, s[0:1]
	s_and_saveexec_b64 s[0:1], s[40:41]
	s_cbranch_execnz .LBB15_203
.LBB15_145:
	s_or_b64 exec, exec, s[0:1]
	s_and_saveexec_b64 s[0:1], s[42:43]
	s_cbranch_execz .LBB15_204
.LBB15_146:
	v_lshlrev_b32_e32 v3, 3, v57
	ds_read_b64 v[3:4], v3
	ds_read_b64 v[5:6], v32 offset:18432
	v_mov_b32_e32 v7, s63
	s_waitcnt lgkmcnt(1)
	v_lshlrev_b64 v[3:4], 3, v[3:4]
	v_add_co_u32_e32 v3, vcc, s62, v3
	v_addc_co_u32_e32 v4, vcc, v7, v4, vcc
	v_lshlrev_b32_e32 v7, 3, v51
	v_add_co_u32_e32 v3, vcc, v3, v7
	v_addc_co_u32_e32 v4, vcc, 0, v4, vcc
	s_waitcnt lgkmcnt(0)
	global_store_dwordx2 v[3:4], v[5:6], off
	s_or_b64 exec, exec, s[0:1]
	s_and_saveexec_b64 s[0:1], s[44:45]
	s_cbranch_execnz .LBB15_205
.LBB15_147:
	s_or_b64 exec, exec, s[0:1]
	s_and_saveexec_b64 s[0:1], s[46:47]
	s_cbranch_execz .LBB15_206
.LBB15_148:
	v_lshlrev_b32_e32 v3, 3, v55
	ds_read_b64 v[3:4], v3
	ds_read_b64 v[5:6], v32 offset:22528
	v_mov_b32_e32 v7, s63
	s_waitcnt lgkmcnt(1)
	v_lshlrev_b64 v[3:4], 3, v[3:4]
	v_add_co_u32_e32 v3, vcc, s62, v3
	v_addc_co_u32_e32 v4, vcc, v7, v4, vcc
	v_lshlrev_b32_e32 v7, 3, v53
	v_add_co_u32_e32 v3, vcc, v3, v7
	v_addc_co_u32_e32 v4, vcc, 0, v4, vcc
	s_waitcnt lgkmcnt(0)
	global_store_dwordx2 v[3:4], v[5:6], off
	s_or_b64 exec, exec, s[0:1]
	s_and_saveexec_b64 s[0:1], s[48:49]
	s_cbranch_execnz .LBB15_207
.LBB15_149:
	s_or_b64 exec, exec, s[0:1]
	s_add_i32 s33, s33, -1
	s_cmp_eq_u32 s6, s33
	s_cbranch_scc0 .LBB15_151
.LBB15_150:
	ds_read_b64 v[3:4], v32
	v_add_co_u32_e32 v5, vcc, v31, v30
	v_addc_co_u32_e64 v6, s[0:1], 0, 0, vcc
	s_waitcnt lgkmcnt(0)
	v_add_co_u32_e32 v3, vcc, v5, v3
	v_addc_co_u32_e32 v4, vcc, v6, v4, vcc
	global_store_dwordx2 v32, v[3:4], s[66:67]
.LBB15_151:
	s_mov_b64 s[0:1], 0
.LBB15_152:
	s_and_b64 vcc, exec, s[0:1]
	s_cbranch_vccz .LBB15_195
; %bb.153:
	s_mov_b32 s55, 0
	s_lshl_b64 s[0:1], s[54:55], 2
	v_mbcnt_hi_u32_b32 v8, -1, v29
	s_add_u32 s0, s56, s0
	v_lshlrev_b32_e32 v4, 2, v8
	v_add_co_u32_e32 v4, vcc, s0, v4
	s_load_dword s8, s[4:5], 0x50
	s_load_dword s0, s[4:5], 0x5c
	s_addc_u32 s1, s57, s1
	v_and_b32_e32 v9, 0xc0, v0
	v_mul_u32_u24_e32 v7, 12, v9
	v_mov_b32_e32 v5, s1
	v_addc_co_u32_e32 v5, vcc, 0, v5, vcc
	v_lshlrev_b32_e32 v6, 2, v7
	v_add_co_u32_e32 v4, vcc, v4, v6
	s_add_u32 s1, s4, 0x50
	v_addc_co_u32_e32 v5, vcc, 0, v5, vcc
	s_addc_u32 s2, s5, 0
	s_waitcnt lgkmcnt(0)
	s_lshr_b32 s3, s0, 16
	global_load_dword v10, v[4:5], off
	s_cmp_lt_u32 s6, s8
	s_cselect_b32 s0, 12, 18
	s_add_u32 s0, s1, s0
	v_mov_b32_e32 v3, 0
	s_addc_u32 s1, s2, 0
	global_load_ushort v12, v3, s[0:1]
	v_mul_u32_u24_e32 v6, 20, v0
	ds_write2_b32 v6, v3, v3 offset0:4 offset1:5
	ds_write2_b32 v6, v3, v3 offset0:6 offset1:7
	ds_write_b32 v6, v3 offset:32
	global_load_dword v11, v[4:5], off offset:256
	global_load_dword v15, v[4:5], off offset:512
	global_load_dword v21, v[4:5], off offset:768
	global_load_dword v26, v[4:5], off offset:1024
	global_load_dword v31, v[4:5], off offset:1280
	global_load_dword v36, v[4:5], off offset:1536
	global_load_dword v38, v[4:5], off offset:1792
	global_load_dword v33, v[4:5], off offset:2048
	global_load_dword v28, v[4:5], off offset:2304
	global_load_dword v23, v[4:5], off offset:2560
	global_load_dword v17, v[4:5], off offset:2816
	s_lshl_b32 s0, -1, s69
	v_mad_u32_u24 v1, v2, s3, v1
	s_not_b32 s9, s0
	s_waitcnt vmcnt(0) lgkmcnt(0)
	s_barrier
	; wave barrier
	v_not_b32_e32 v5, v10
	v_lshrrev_b32_e32 v2, s68, v5
	v_and_b32_e32 v13, s9, v2
	v_and_b32_e32 v10, 1, v13
	v_lshlrev_b32_e32 v4, 30, v13
	v_mad_u64_u32 v[1:2], s[0:1], v1, v12, v[0:1]
	v_add_co_u32_e32 v12, vcc, -1, v10
	v_addc_co_u32_e64 v14, s[0:1], 0, -1, vcc
	v_mul_lo_u32 v2, v13, 20
	v_cmp_ne_u32_e32 vcc, 0, v10
	v_cmp_gt_i64_e64 s[0:1], 0, v[3:4]
	v_not_b32_e32 v10, v4
	v_lshlrev_b32_e32 v4, 29, v13
	v_xor_b32_e32 v14, vcc_hi, v14
	v_xor_b32_e32 v12, vcc_lo, v12
	v_ashrrev_i32_e32 v10, 31, v10
	v_cmp_gt_i64_e32 vcc, 0, v[3:4]
	v_not_b32_e32 v16, v4
	v_lshlrev_b32_e32 v4, 28, v13
	v_and_b32_e32 v14, exec_hi, v14
	v_and_b32_e32 v12, exec_lo, v12
	v_xor_b32_e32 v18, s1, v10
	v_xor_b32_e32 v10, s0, v10
	v_ashrrev_i32_e32 v16, 31, v16
	v_cmp_gt_i64_e64 s[0:1], 0, v[3:4]
	v_not_b32_e32 v19, v4
	v_lshlrev_b32_e32 v4, 27, v13
	v_lshrrev_b32_e32 v20, 6, v1
	v_and_b32_e32 v1, v14, v18
	v_and_b32_e32 v12, v12, v10
	v_xor_b32_e32 v14, vcc_hi, v16
	v_xor_b32_e32 v16, vcc_lo, v16
	v_ashrrev_i32_e32 v18, 31, v19
	v_cmp_gt_i64_e32 vcc, 0, v[3:4]
	v_not_b32_e32 v4, v4
	v_lshl_add_u32 v10, v20, 2, v2
	v_and_b32_e32 v1, v1, v14
	v_and_b32_e32 v2, v12, v16
	v_xor_b32_e32 v12, s1, v18
	v_xor_b32_e32 v14, s0, v18
	v_ashrrev_i32_e32 v4, 31, v4
	v_and_b32_e32 v1, v1, v12
	v_and_b32_e32 v2, v2, v14
	v_xor_b32_e32 v12, vcc_hi, v4
	v_xor_b32_e32 v4, vcc_lo, v4
	v_and_b32_e32 v2, v2, v4
	v_lshlrev_b32_e32 v4, 26, v13
	v_cmp_gt_i64_e32 vcc, 0, v[3:4]
	v_not_b32_e32 v4, v4
	v_ashrrev_i32_e32 v4, 31, v4
	v_and_b32_e32 v1, v1, v12
	v_xor_b32_e32 v12, vcc_hi, v4
	v_xor_b32_e32 v4, vcc_lo, v4
	v_and_b32_e32 v2, v2, v4
	v_lshlrev_b32_e32 v4, 25, v13
	v_cmp_gt_i64_e32 vcc, 0, v[3:4]
	v_not_b32_e32 v4, v4
	v_ashrrev_i32_e32 v4, 31, v4
	v_and_b32_e32 v1, v1, v12
	v_xor_b32_e32 v12, vcc_hi, v4
	v_xor_b32_e32 v4, vcc_lo, v4
	v_and_b32_e32 v1, v1, v12
	v_and_b32_e32 v12, v2, v4
	v_lshlrev_b32_e32 v4, 24, v13
	v_cmp_gt_i64_e32 vcc, 0, v[3:4]
	v_not_b32_e32 v2, v4
	v_ashrrev_i32_e32 v2, 31, v2
	v_xor_b32_e32 v4, vcc_hi, v2
	v_xor_b32_e32 v13, vcc_lo, v2
	v_and_b32_e32 v2, v1, v4
	v_and_b32_e32 v1, v12, v13
	v_mbcnt_lo_u32_b32 v4, v1, 0
	v_mbcnt_hi_u32_b32 v12, v2, v4
	v_cmp_ne_u64_e32 vcc, 0, v[1:2]
	v_cmp_eq_u32_e64 s[0:1], 0, v12
	s_and_b64 s[2:3], vcc, s[0:1]
	s_and_saveexec_b64 s[0:1], s[2:3]
; %bb.154:
	v_bcnt_u32_b32 v1, v1, 0
	v_bcnt_u32_b32 v1, v2, v1
	ds_write_b32 v10, v1 offset:16
; %bb.155:
	s_or_b64 exec, exec, s[0:1]
	v_not_b32_e32 v11, v11
	v_lshrrev_b32_e32 v1, s68, v11
	v_and_b32_e32 v1, s9, v1
	v_mul_lo_u32 v2, v1, 20
	v_and_b32_e32 v4, 1, v1
	; wave barrier
	v_lshl_add_u32 v14, v20, 2, v2
	v_add_co_u32_e32 v2, vcc, -1, v4
	v_addc_co_u32_e64 v16, s[0:1], 0, -1, vcc
	v_cmp_ne_u32_e32 vcc, 0, v4
	v_xor_b32_e32 v4, vcc_hi, v16
	v_and_b32_e32 v16, exec_hi, v4
	v_lshlrev_b32_e32 v4, 30, v1
	v_xor_b32_e32 v2, vcc_lo, v2
	v_cmp_gt_i64_e32 vcc, 0, v[3:4]
	v_not_b32_e32 v4, v4
	v_ashrrev_i32_e32 v4, 31, v4
	v_and_b32_e32 v2, exec_lo, v2
	v_xor_b32_e32 v18, vcc_hi, v4
	v_xor_b32_e32 v4, vcc_lo, v4
	v_and_b32_e32 v2, v2, v4
	v_lshlrev_b32_e32 v4, 29, v1
	v_cmp_gt_i64_e32 vcc, 0, v[3:4]
	v_not_b32_e32 v4, v4
	v_ashrrev_i32_e32 v4, 31, v4
	v_and_b32_e32 v16, v16, v18
	v_xor_b32_e32 v18, vcc_hi, v4
	v_xor_b32_e32 v4, vcc_lo, v4
	v_and_b32_e32 v2, v2, v4
	v_lshlrev_b32_e32 v4, 28, v1
	v_cmp_gt_i64_e32 vcc, 0, v[3:4]
	v_not_b32_e32 v4, v4
	v_ashrrev_i32_e32 v4, 31, v4
	v_and_b32_e32 v16, v16, v18
	;; [unrolled: 8-line block ×5, first 2 shown]
	v_xor_b32_e32 v18, vcc_hi, v4
	v_xor_b32_e32 v4, vcc_lo, v4
	v_and_b32_e32 v16, v16, v18
	v_and_b32_e32 v18, v2, v4
	v_lshlrev_b32_e32 v4, 24, v1
	v_cmp_gt_i64_e32 vcc, 0, v[3:4]
	v_not_b32_e32 v1, v4
	v_ashrrev_i32_e32 v1, 31, v1
	v_xor_b32_e32 v2, vcc_hi, v1
	v_xor_b32_e32 v1, vcc_lo, v1
	ds_read_b32 v13, v14 offset:16
	v_and_b32_e32 v1, v18, v1
	v_and_b32_e32 v2, v16, v2
	v_mbcnt_lo_u32_b32 v3, v1, 0
	v_mbcnt_hi_u32_b32 v16, v2, v3
	v_cmp_ne_u64_e32 vcc, 0, v[1:2]
	v_cmp_eq_u32_e64 s[0:1], 0, v16
	s_and_b64 s[2:3], vcc, s[0:1]
	; wave barrier
	s_and_saveexec_b64 s[0:1], s[2:3]
	s_cbranch_execz .LBB15_157
; %bb.156:
	v_bcnt_u32_b32 v1, v1, 0
	v_bcnt_u32_b32 v1, v2, v1
	s_waitcnt lgkmcnt(0)
	v_add_u32_e32 v1, v13, v1
	ds_write_b32 v14, v1 offset:16
.LBB15_157:
	s_or_b64 exec, exec, s[0:1]
	v_not_b32_e32 v15, v15
	v_lshrrev_b32_e32 v1, s68, v15
	v_and_b32_e32 v3, s9, v1
	v_mul_lo_u32 v1, v3, 20
	v_and_b32_e32 v2, 1, v3
	v_add_co_u32_e32 v4, vcc, -1, v2
	v_addc_co_u32_e64 v22, s[0:1], 0, -1, vcc
	v_cmp_ne_u32_e32 vcc, 0, v2
	v_xor_b32_e32 v2, vcc_hi, v22
	v_lshl_add_u32 v19, v20, 2, v1
	v_mov_b32_e32 v1, 0
	v_and_b32_e32 v22, exec_hi, v2
	v_lshlrev_b32_e32 v2, 30, v3
	v_xor_b32_e32 v4, vcc_lo, v4
	v_cmp_gt_i64_e32 vcc, 0, v[1:2]
	v_not_b32_e32 v2, v2
	v_ashrrev_i32_e32 v2, 31, v2
	v_and_b32_e32 v4, exec_lo, v4
	v_xor_b32_e32 v24, vcc_hi, v2
	v_xor_b32_e32 v2, vcc_lo, v2
	v_and_b32_e32 v4, v4, v2
	v_lshlrev_b32_e32 v2, 29, v3
	v_cmp_gt_i64_e32 vcc, 0, v[1:2]
	v_not_b32_e32 v2, v2
	v_ashrrev_i32_e32 v2, 31, v2
	v_and_b32_e32 v22, v22, v24
	v_xor_b32_e32 v24, vcc_hi, v2
	v_xor_b32_e32 v2, vcc_lo, v2
	v_and_b32_e32 v4, v4, v2
	v_lshlrev_b32_e32 v2, 28, v3
	v_cmp_gt_i64_e32 vcc, 0, v[1:2]
	v_not_b32_e32 v2, v2
	v_ashrrev_i32_e32 v2, 31, v2
	v_and_b32_e32 v22, v22, v24
	;; [unrolled: 8-line block ×5, first 2 shown]
	v_xor_b32_e32 v24, vcc_hi, v2
	v_xor_b32_e32 v2, vcc_lo, v2
	v_and_b32_e32 v4, v4, v2
	v_lshlrev_b32_e32 v2, 24, v3
	v_cmp_gt_i64_e32 vcc, 0, v[1:2]
	v_not_b32_e32 v2, v2
	v_ashrrev_i32_e32 v2, 31, v2
	v_xor_b32_e32 v3, vcc_hi, v2
	v_xor_b32_e32 v2, vcc_lo, v2
	; wave barrier
	ds_read_b32 v18, v19 offset:16
	v_and_b32_e32 v22, v22, v24
	v_and_b32_e32 v2, v4, v2
	;; [unrolled: 1-line block ×3, first 2 shown]
	v_mbcnt_lo_u32_b32 v4, v2, 0
	v_mbcnt_hi_u32_b32 v22, v3, v4
	v_cmp_ne_u64_e32 vcc, 0, v[2:3]
	v_cmp_eq_u32_e64 s[0:1], 0, v22
	s_and_b64 s[2:3], vcc, s[0:1]
	; wave barrier
	s_and_saveexec_b64 s[0:1], s[2:3]
	s_cbranch_execz .LBB15_159
; %bb.158:
	v_bcnt_u32_b32 v2, v2, 0
	v_bcnt_u32_b32 v2, v3, v2
	s_waitcnt lgkmcnt(0)
	v_add_u32_e32 v2, v18, v2
	ds_write_b32 v19, v2 offset:16
.LBB15_159:
	s_or_b64 exec, exec, s[0:1]
	v_not_b32_e32 v21, v21
	v_lshrrev_b32_e32 v2, s68, v21
	v_and_b32_e32 v3, s9, v2
	v_mul_lo_u32 v2, v3, 20
	v_and_b32_e32 v4, 1, v3
	; wave barrier
	v_lshl_add_u32 v25, v20, 2, v2
	v_add_co_u32_e32 v2, vcc, -1, v4
	v_addc_co_u32_e64 v27, s[0:1], 0, -1, vcc
	v_cmp_ne_u32_e32 vcc, 0, v4
	v_xor_b32_e32 v2, vcc_lo, v2
	v_xor_b32_e32 v4, vcc_hi, v27
	v_and_b32_e32 v27, exec_lo, v2
	v_lshlrev_b32_e32 v2, 30, v3
	v_cmp_gt_i64_e32 vcc, 0, v[1:2]
	v_not_b32_e32 v2, v2
	v_ashrrev_i32_e32 v2, 31, v2
	v_xor_b32_e32 v29, vcc_hi, v2
	v_xor_b32_e32 v2, vcc_lo, v2
	v_and_b32_e32 v27, v27, v2
	v_lshlrev_b32_e32 v2, 29, v3
	v_cmp_gt_i64_e32 vcc, 0, v[1:2]
	v_not_b32_e32 v2, v2
	v_and_b32_e32 v4, exec_hi, v4
	v_ashrrev_i32_e32 v2, 31, v2
	v_and_b32_e32 v4, v4, v29
	v_xor_b32_e32 v29, vcc_hi, v2
	v_xor_b32_e32 v2, vcc_lo, v2
	v_and_b32_e32 v27, v27, v2
	v_lshlrev_b32_e32 v2, 28, v3
	v_cmp_gt_i64_e32 vcc, 0, v[1:2]
	v_not_b32_e32 v2, v2
	v_ashrrev_i32_e32 v2, 31, v2
	v_and_b32_e32 v4, v4, v29
	v_xor_b32_e32 v29, vcc_hi, v2
	v_xor_b32_e32 v2, vcc_lo, v2
	v_and_b32_e32 v27, v27, v2
	v_lshlrev_b32_e32 v2, 27, v3
	v_cmp_gt_i64_e32 vcc, 0, v[1:2]
	v_not_b32_e32 v2, v2
	;; [unrolled: 8-line block ×5, first 2 shown]
	v_ashrrev_i32_e32 v1, 31, v1
	v_xor_b32_e32 v2, vcc_hi, v1
	v_xor_b32_e32 v1, vcc_lo, v1
	ds_read_b32 v24, v25 offset:16
	v_and_b32_e32 v4, v4, v29
	v_and_b32_e32 v1, v27, v1
	;; [unrolled: 1-line block ×3, first 2 shown]
	v_mbcnt_lo_u32_b32 v3, v1, 0
	v_mbcnt_hi_u32_b32 v27, v2, v3
	v_cmp_ne_u64_e32 vcc, 0, v[1:2]
	v_cmp_eq_u32_e64 s[0:1], 0, v27
	s_and_b64 s[2:3], vcc, s[0:1]
	; wave barrier
	s_and_saveexec_b64 s[0:1], s[2:3]
	s_cbranch_execz .LBB15_161
; %bb.160:
	v_bcnt_u32_b32 v1, v1, 0
	v_bcnt_u32_b32 v1, v2, v1
	s_waitcnt lgkmcnt(0)
	v_add_u32_e32 v1, v24, v1
	ds_write_b32 v25, v1 offset:16
.LBB15_161:
	s_or_b64 exec, exec, s[0:1]
	v_not_b32_e32 v26, v26
	v_lshrrev_b32_e32 v1, s68, v26
	v_and_b32_e32 v3, s9, v1
	v_mul_lo_u32 v1, v3, 20
	v_and_b32_e32 v2, 1, v3
	v_add_co_u32_e32 v4, vcc, -1, v2
	v_addc_co_u32_e64 v32, s[0:1], 0, -1, vcc
	v_cmp_ne_u32_e32 vcc, 0, v2
	v_xor_b32_e32 v2, vcc_hi, v32
	v_lshl_add_u32 v30, v20, 2, v1
	v_mov_b32_e32 v1, 0
	v_and_b32_e32 v32, exec_hi, v2
	v_lshlrev_b32_e32 v2, 30, v3
	v_xor_b32_e32 v4, vcc_lo, v4
	v_cmp_gt_i64_e32 vcc, 0, v[1:2]
	v_not_b32_e32 v2, v2
	v_ashrrev_i32_e32 v2, 31, v2
	v_and_b32_e32 v4, exec_lo, v4
	v_xor_b32_e32 v34, vcc_hi, v2
	v_xor_b32_e32 v2, vcc_lo, v2
	v_and_b32_e32 v4, v4, v2
	v_lshlrev_b32_e32 v2, 29, v3
	v_cmp_gt_i64_e32 vcc, 0, v[1:2]
	v_not_b32_e32 v2, v2
	v_ashrrev_i32_e32 v2, 31, v2
	v_and_b32_e32 v32, v32, v34
	v_xor_b32_e32 v34, vcc_hi, v2
	v_xor_b32_e32 v2, vcc_lo, v2
	v_and_b32_e32 v4, v4, v2
	v_lshlrev_b32_e32 v2, 28, v3
	v_cmp_gt_i64_e32 vcc, 0, v[1:2]
	v_not_b32_e32 v2, v2
	v_ashrrev_i32_e32 v2, 31, v2
	v_and_b32_e32 v32, v32, v34
	v_xor_b32_e32 v34, vcc_hi, v2
	v_xor_b32_e32 v2, vcc_lo, v2
	v_and_b32_e32 v4, v4, v2
	v_lshlrev_b32_e32 v2, 27, v3
	v_cmp_gt_i64_e32 vcc, 0, v[1:2]
	v_not_b32_e32 v2, v2
	v_ashrrev_i32_e32 v2, 31, v2
	v_and_b32_e32 v32, v32, v34
	v_xor_b32_e32 v34, vcc_hi, v2
	v_xor_b32_e32 v2, vcc_lo, v2
	v_and_b32_e32 v4, v4, v2
	v_lshlrev_b32_e32 v2, 26, v3
	v_cmp_gt_i64_e32 vcc, 0, v[1:2]
	v_not_b32_e32 v2, v2
	v_ashrrev_i32_e32 v2, 31, v2
	v_and_b32_e32 v32, v32, v34
	v_xor_b32_e32 v34, vcc_hi, v2
	v_xor_b32_e32 v2, vcc_lo, v2
	v_and_b32_e32 v4, v4, v2
	v_lshlrev_b32_e32 v2, 25, v3
	v_cmp_gt_i64_e32 vcc, 0, v[1:2]
	v_not_b32_e32 v2, v2
	v_ashrrev_i32_e32 v2, 31, v2
	v_and_b32_e32 v32, v32, v34
	v_xor_b32_e32 v34, vcc_hi, v2
	v_xor_b32_e32 v2, vcc_lo, v2
	v_and_b32_e32 v4, v4, v2
	v_lshlrev_b32_e32 v2, 24, v3
	v_cmp_gt_i64_e32 vcc, 0, v[1:2]
	v_not_b32_e32 v2, v2
	v_ashrrev_i32_e32 v2, 31, v2
	v_xor_b32_e32 v3, vcc_hi, v2
	v_xor_b32_e32 v2, vcc_lo, v2
	; wave barrier
	ds_read_b32 v29, v30 offset:16
	v_and_b32_e32 v32, v32, v34
	v_and_b32_e32 v2, v4, v2
	v_and_b32_e32 v3, v32, v3
	v_mbcnt_lo_u32_b32 v4, v2, 0
	v_mbcnt_hi_u32_b32 v32, v3, v4
	v_cmp_ne_u64_e32 vcc, 0, v[2:3]
	v_cmp_eq_u32_e64 s[0:1], 0, v32
	s_and_b64 s[2:3], vcc, s[0:1]
	; wave barrier
	s_and_saveexec_b64 s[0:1], s[2:3]
	s_cbranch_execz .LBB15_163
; %bb.162:
	v_bcnt_u32_b32 v2, v2, 0
	v_bcnt_u32_b32 v2, v3, v2
	s_waitcnt lgkmcnt(0)
	v_add_u32_e32 v2, v29, v2
	ds_write_b32 v30, v2 offset:16
.LBB15_163:
	s_or_b64 exec, exec, s[0:1]
	v_not_b32_e32 v31, v31
	v_lshrrev_b32_e32 v2, s68, v31
	v_and_b32_e32 v3, s9, v2
	v_mul_lo_u32 v2, v3, 20
	v_and_b32_e32 v4, 1, v3
	; wave barrier
	v_lshl_add_u32 v35, v20, 2, v2
	v_add_co_u32_e32 v2, vcc, -1, v4
	v_addc_co_u32_e64 v37, s[0:1], 0, -1, vcc
	v_cmp_ne_u32_e32 vcc, 0, v4
	v_xor_b32_e32 v2, vcc_lo, v2
	v_xor_b32_e32 v4, vcc_hi, v37
	v_and_b32_e32 v37, exec_lo, v2
	v_lshlrev_b32_e32 v2, 30, v3
	v_cmp_gt_i64_e32 vcc, 0, v[1:2]
	v_not_b32_e32 v2, v2
	v_ashrrev_i32_e32 v2, 31, v2
	v_xor_b32_e32 v39, vcc_hi, v2
	v_xor_b32_e32 v2, vcc_lo, v2
	v_and_b32_e32 v37, v37, v2
	v_lshlrev_b32_e32 v2, 29, v3
	v_cmp_gt_i64_e32 vcc, 0, v[1:2]
	v_not_b32_e32 v2, v2
	v_and_b32_e32 v4, exec_hi, v4
	v_ashrrev_i32_e32 v2, 31, v2
	v_and_b32_e32 v4, v4, v39
	v_xor_b32_e32 v39, vcc_hi, v2
	v_xor_b32_e32 v2, vcc_lo, v2
	v_and_b32_e32 v37, v37, v2
	v_lshlrev_b32_e32 v2, 28, v3
	v_cmp_gt_i64_e32 vcc, 0, v[1:2]
	v_not_b32_e32 v2, v2
	v_ashrrev_i32_e32 v2, 31, v2
	v_and_b32_e32 v4, v4, v39
	v_xor_b32_e32 v39, vcc_hi, v2
	v_xor_b32_e32 v2, vcc_lo, v2
	v_and_b32_e32 v37, v37, v2
	v_lshlrev_b32_e32 v2, 27, v3
	v_cmp_gt_i64_e32 vcc, 0, v[1:2]
	v_not_b32_e32 v2, v2
	;; [unrolled: 8-line block ×5, first 2 shown]
	v_ashrrev_i32_e32 v1, 31, v1
	v_xor_b32_e32 v2, vcc_hi, v1
	v_xor_b32_e32 v1, vcc_lo, v1
	ds_read_b32 v34, v35 offset:16
	v_and_b32_e32 v4, v4, v39
	v_and_b32_e32 v1, v37, v1
	;; [unrolled: 1-line block ×3, first 2 shown]
	v_mbcnt_lo_u32_b32 v3, v1, 0
	v_mbcnt_hi_u32_b32 v37, v2, v3
	v_cmp_ne_u64_e32 vcc, 0, v[1:2]
	v_cmp_eq_u32_e64 s[0:1], 0, v37
	s_and_b64 s[2:3], vcc, s[0:1]
	; wave barrier
	s_and_saveexec_b64 s[0:1], s[2:3]
	s_cbranch_execz .LBB15_165
; %bb.164:
	v_bcnt_u32_b32 v1, v1, 0
	v_bcnt_u32_b32 v1, v2, v1
	s_waitcnt lgkmcnt(0)
	v_add_u32_e32 v1, v34, v1
	ds_write_b32 v35, v1 offset:16
.LBB15_165:
	s_or_b64 exec, exec, s[0:1]
	v_not_b32_e32 v36, v36
	v_lshrrev_b32_e32 v1, s68, v36
	v_and_b32_e32 v3, s9, v1
	v_mul_lo_u32 v1, v3, 20
	v_and_b32_e32 v2, 1, v3
	v_add_co_u32_e32 v4, vcc, -1, v2
	v_addc_co_u32_e64 v41, s[0:1], 0, -1, vcc
	v_cmp_ne_u32_e32 vcc, 0, v2
	v_xor_b32_e32 v2, vcc_hi, v41
	v_lshl_add_u32 v40, v20, 2, v1
	v_mov_b32_e32 v1, 0
	v_and_b32_e32 v41, exec_hi, v2
	v_lshlrev_b32_e32 v2, 30, v3
	v_xor_b32_e32 v4, vcc_lo, v4
	v_cmp_gt_i64_e32 vcc, 0, v[1:2]
	v_not_b32_e32 v2, v2
	v_ashrrev_i32_e32 v2, 31, v2
	v_and_b32_e32 v4, exec_lo, v4
	v_xor_b32_e32 v42, vcc_hi, v2
	v_xor_b32_e32 v2, vcc_lo, v2
	v_and_b32_e32 v4, v4, v2
	v_lshlrev_b32_e32 v2, 29, v3
	v_cmp_gt_i64_e32 vcc, 0, v[1:2]
	v_not_b32_e32 v2, v2
	v_ashrrev_i32_e32 v2, 31, v2
	v_and_b32_e32 v41, v41, v42
	v_xor_b32_e32 v42, vcc_hi, v2
	v_xor_b32_e32 v2, vcc_lo, v2
	v_and_b32_e32 v4, v4, v2
	v_lshlrev_b32_e32 v2, 28, v3
	v_cmp_gt_i64_e32 vcc, 0, v[1:2]
	v_not_b32_e32 v2, v2
	v_ashrrev_i32_e32 v2, 31, v2
	v_and_b32_e32 v41, v41, v42
	;; [unrolled: 8-line block ×5, first 2 shown]
	v_xor_b32_e32 v42, vcc_hi, v2
	v_xor_b32_e32 v2, vcc_lo, v2
	v_and_b32_e32 v4, v4, v2
	v_lshlrev_b32_e32 v2, 24, v3
	v_cmp_gt_i64_e32 vcc, 0, v[1:2]
	v_not_b32_e32 v2, v2
	v_ashrrev_i32_e32 v2, 31, v2
	v_xor_b32_e32 v3, vcc_hi, v2
	v_xor_b32_e32 v2, vcc_lo, v2
	; wave barrier
	ds_read_b32 v39, v40 offset:16
	v_and_b32_e32 v41, v41, v42
	v_and_b32_e32 v2, v4, v2
	;; [unrolled: 1-line block ×3, first 2 shown]
	v_mbcnt_lo_u32_b32 v4, v2, 0
	v_mbcnt_hi_u32_b32 v41, v3, v4
	v_cmp_ne_u64_e32 vcc, 0, v[2:3]
	v_cmp_eq_u32_e64 s[0:1], 0, v41
	s_and_b64 s[2:3], vcc, s[0:1]
	; wave barrier
	s_and_saveexec_b64 s[0:1], s[2:3]
	s_cbranch_execz .LBB15_167
; %bb.166:
	v_bcnt_u32_b32 v2, v2, 0
	v_bcnt_u32_b32 v2, v3, v2
	s_waitcnt lgkmcnt(0)
	v_add_u32_e32 v2, v39, v2
	ds_write_b32 v40, v2 offset:16
.LBB15_167:
	s_or_b64 exec, exec, s[0:1]
	v_not_b32_e32 v38, v38
	v_lshrrev_b32_e32 v2, s68, v38
	v_and_b32_e32 v3, s9, v2
	v_mul_lo_u32 v2, v3, 20
	v_and_b32_e32 v4, 1, v3
	; wave barrier
	v_lshl_add_u32 v43, v20, 2, v2
	v_add_co_u32_e32 v2, vcc, -1, v4
	v_addc_co_u32_e64 v44, s[0:1], 0, -1, vcc
	v_cmp_ne_u32_e32 vcc, 0, v4
	v_xor_b32_e32 v2, vcc_lo, v2
	v_xor_b32_e32 v4, vcc_hi, v44
	v_and_b32_e32 v44, exec_lo, v2
	v_lshlrev_b32_e32 v2, 30, v3
	v_cmp_gt_i64_e32 vcc, 0, v[1:2]
	v_not_b32_e32 v2, v2
	v_ashrrev_i32_e32 v2, 31, v2
	v_xor_b32_e32 v45, vcc_hi, v2
	v_xor_b32_e32 v2, vcc_lo, v2
	v_and_b32_e32 v44, v44, v2
	v_lshlrev_b32_e32 v2, 29, v3
	v_cmp_gt_i64_e32 vcc, 0, v[1:2]
	v_not_b32_e32 v2, v2
	v_and_b32_e32 v4, exec_hi, v4
	v_ashrrev_i32_e32 v2, 31, v2
	v_and_b32_e32 v4, v4, v45
	v_xor_b32_e32 v45, vcc_hi, v2
	v_xor_b32_e32 v2, vcc_lo, v2
	v_and_b32_e32 v44, v44, v2
	v_lshlrev_b32_e32 v2, 28, v3
	v_cmp_gt_i64_e32 vcc, 0, v[1:2]
	v_not_b32_e32 v2, v2
	v_ashrrev_i32_e32 v2, 31, v2
	v_and_b32_e32 v4, v4, v45
	v_xor_b32_e32 v45, vcc_hi, v2
	v_xor_b32_e32 v2, vcc_lo, v2
	v_and_b32_e32 v44, v44, v2
	v_lshlrev_b32_e32 v2, 27, v3
	v_cmp_gt_i64_e32 vcc, 0, v[1:2]
	v_not_b32_e32 v2, v2
	;; [unrolled: 8-line block ×5, first 2 shown]
	v_ashrrev_i32_e32 v1, 31, v1
	v_xor_b32_e32 v2, vcc_hi, v1
	v_xor_b32_e32 v1, vcc_lo, v1
	ds_read_b32 v42, v43 offset:16
	v_and_b32_e32 v4, v4, v45
	v_and_b32_e32 v1, v44, v1
	;; [unrolled: 1-line block ×3, first 2 shown]
	v_mbcnt_lo_u32_b32 v3, v1, 0
	v_mbcnt_hi_u32_b32 v44, v2, v3
	v_cmp_ne_u64_e32 vcc, 0, v[1:2]
	v_cmp_eq_u32_e64 s[0:1], 0, v44
	s_and_b64 s[2:3], vcc, s[0:1]
	; wave barrier
	s_and_saveexec_b64 s[0:1], s[2:3]
	s_cbranch_execz .LBB15_169
; %bb.168:
	v_bcnt_u32_b32 v1, v1, 0
	v_bcnt_u32_b32 v1, v2, v1
	s_waitcnt lgkmcnt(0)
	v_add_u32_e32 v1, v42, v1
	ds_write_b32 v43, v1 offset:16
.LBB15_169:
	s_or_b64 exec, exec, s[0:1]
	v_not_b32_e32 v33, v33
	v_lshrrev_b32_e32 v1, s68, v33
	v_and_b32_e32 v3, s9, v1
	v_mul_lo_u32 v1, v3, 20
	v_and_b32_e32 v2, 1, v3
	v_add_co_u32_e32 v4, vcc, -1, v2
	v_addc_co_u32_e64 v47, s[0:1], 0, -1, vcc
	v_cmp_ne_u32_e32 vcc, 0, v2
	v_xor_b32_e32 v2, vcc_hi, v47
	v_lshl_add_u32 v46, v20, 2, v1
	v_mov_b32_e32 v1, 0
	v_and_b32_e32 v47, exec_hi, v2
	v_lshlrev_b32_e32 v2, 30, v3
	v_xor_b32_e32 v4, vcc_lo, v4
	v_cmp_gt_i64_e32 vcc, 0, v[1:2]
	v_not_b32_e32 v2, v2
	v_ashrrev_i32_e32 v2, 31, v2
	v_and_b32_e32 v4, exec_lo, v4
	v_xor_b32_e32 v48, vcc_hi, v2
	v_xor_b32_e32 v2, vcc_lo, v2
	v_and_b32_e32 v4, v4, v2
	v_lshlrev_b32_e32 v2, 29, v3
	v_cmp_gt_i64_e32 vcc, 0, v[1:2]
	v_not_b32_e32 v2, v2
	v_ashrrev_i32_e32 v2, 31, v2
	v_and_b32_e32 v47, v47, v48
	v_xor_b32_e32 v48, vcc_hi, v2
	v_xor_b32_e32 v2, vcc_lo, v2
	v_and_b32_e32 v4, v4, v2
	v_lshlrev_b32_e32 v2, 28, v3
	v_cmp_gt_i64_e32 vcc, 0, v[1:2]
	v_not_b32_e32 v2, v2
	v_ashrrev_i32_e32 v2, 31, v2
	v_and_b32_e32 v47, v47, v48
	;; [unrolled: 8-line block ×5, first 2 shown]
	v_xor_b32_e32 v48, vcc_hi, v2
	v_xor_b32_e32 v2, vcc_lo, v2
	v_and_b32_e32 v4, v4, v2
	v_lshlrev_b32_e32 v2, 24, v3
	v_cmp_gt_i64_e32 vcc, 0, v[1:2]
	v_not_b32_e32 v2, v2
	v_ashrrev_i32_e32 v2, 31, v2
	v_xor_b32_e32 v3, vcc_hi, v2
	v_xor_b32_e32 v2, vcc_lo, v2
	; wave barrier
	ds_read_b32 v45, v46 offset:16
	v_and_b32_e32 v47, v47, v48
	v_and_b32_e32 v2, v4, v2
	;; [unrolled: 1-line block ×3, first 2 shown]
	v_mbcnt_lo_u32_b32 v4, v2, 0
	v_mbcnt_hi_u32_b32 v47, v3, v4
	v_cmp_ne_u64_e32 vcc, 0, v[2:3]
	v_cmp_eq_u32_e64 s[0:1], 0, v47
	s_and_b64 s[2:3], vcc, s[0:1]
	; wave barrier
	s_and_saveexec_b64 s[0:1], s[2:3]
	s_cbranch_execz .LBB15_171
; %bb.170:
	v_bcnt_u32_b32 v2, v2, 0
	v_bcnt_u32_b32 v2, v3, v2
	s_waitcnt lgkmcnt(0)
	v_add_u32_e32 v2, v45, v2
	ds_write_b32 v46, v2 offset:16
.LBB15_171:
	s_or_b64 exec, exec, s[0:1]
	v_not_b32_e32 v28, v28
	v_lshrrev_b32_e32 v2, s68, v28
	v_and_b32_e32 v3, s9, v2
	v_mul_lo_u32 v2, v3, 20
	v_and_b32_e32 v4, 1, v3
	; wave barrier
	v_lshl_add_u32 v49, v20, 2, v2
	v_add_co_u32_e32 v2, vcc, -1, v4
	v_addc_co_u32_e64 v50, s[0:1], 0, -1, vcc
	v_cmp_ne_u32_e32 vcc, 0, v4
	v_xor_b32_e32 v2, vcc_lo, v2
	v_xor_b32_e32 v4, vcc_hi, v50
	v_and_b32_e32 v50, exec_lo, v2
	v_lshlrev_b32_e32 v2, 30, v3
	v_cmp_gt_i64_e32 vcc, 0, v[1:2]
	v_not_b32_e32 v2, v2
	v_ashrrev_i32_e32 v2, 31, v2
	v_xor_b32_e32 v51, vcc_hi, v2
	v_xor_b32_e32 v2, vcc_lo, v2
	v_and_b32_e32 v50, v50, v2
	v_lshlrev_b32_e32 v2, 29, v3
	v_cmp_gt_i64_e32 vcc, 0, v[1:2]
	v_not_b32_e32 v2, v2
	v_and_b32_e32 v4, exec_hi, v4
	v_ashrrev_i32_e32 v2, 31, v2
	v_and_b32_e32 v4, v4, v51
	v_xor_b32_e32 v51, vcc_hi, v2
	v_xor_b32_e32 v2, vcc_lo, v2
	v_and_b32_e32 v50, v50, v2
	v_lshlrev_b32_e32 v2, 28, v3
	v_cmp_gt_i64_e32 vcc, 0, v[1:2]
	v_not_b32_e32 v2, v2
	v_ashrrev_i32_e32 v2, 31, v2
	v_and_b32_e32 v4, v4, v51
	v_xor_b32_e32 v51, vcc_hi, v2
	v_xor_b32_e32 v2, vcc_lo, v2
	v_and_b32_e32 v50, v50, v2
	v_lshlrev_b32_e32 v2, 27, v3
	v_cmp_gt_i64_e32 vcc, 0, v[1:2]
	v_not_b32_e32 v2, v2
	;; [unrolled: 8-line block ×5, first 2 shown]
	v_ashrrev_i32_e32 v1, 31, v1
	v_xor_b32_e32 v2, vcc_hi, v1
	v_xor_b32_e32 v1, vcc_lo, v1
	ds_read_b32 v48, v49 offset:16
	v_and_b32_e32 v4, v4, v51
	v_and_b32_e32 v1, v50, v1
	;; [unrolled: 1-line block ×3, first 2 shown]
	v_mbcnt_lo_u32_b32 v3, v1, 0
	v_mbcnt_hi_u32_b32 v52, v2, v3
	v_cmp_ne_u64_e32 vcc, 0, v[1:2]
	v_cmp_eq_u32_e64 s[0:1], 0, v52
	s_and_b64 s[2:3], vcc, s[0:1]
	; wave barrier
	s_and_saveexec_b64 s[0:1], s[2:3]
	s_cbranch_execz .LBB15_173
; %bb.172:
	v_bcnt_u32_b32 v1, v1, 0
	v_bcnt_u32_b32 v1, v2, v1
	s_waitcnt lgkmcnt(0)
	v_add_u32_e32 v1, v48, v1
	ds_write_b32 v49, v1 offset:16
.LBB15_173:
	s_or_b64 exec, exec, s[0:1]
	v_not_b32_e32 v51, v23
	v_lshrrev_b32_e32 v1, s68, v51
	v_and_b32_e32 v3, s9, v1
	v_mul_lo_u32 v1, v3, 20
	v_and_b32_e32 v2, 1, v3
	v_add_co_u32_e32 v4, vcc, -1, v2
	v_addc_co_u32_e64 v50, s[0:1], 0, -1, vcc
	v_cmp_ne_u32_e32 vcc, 0, v2
	v_xor_b32_e32 v2, vcc_hi, v50
	v_lshl_add_u32 v23, v20, 2, v1
	v_mov_b32_e32 v1, 0
	v_and_b32_e32 v50, exec_hi, v2
	v_lshlrev_b32_e32 v2, 30, v3
	v_xor_b32_e32 v4, vcc_lo, v4
	v_cmp_gt_i64_e32 vcc, 0, v[1:2]
	v_not_b32_e32 v2, v2
	v_ashrrev_i32_e32 v2, 31, v2
	v_and_b32_e32 v4, exec_lo, v4
	v_xor_b32_e32 v54, vcc_hi, v2
	v_xor_b32_e32 v2, vcc_lo, v2
	v_and_b32_e32 v4, v4, v2
	v_lshlrev_b32_e32 v2, 29, v3
	v_cmp_gt_i64_e32 vcc, 0, v[1:2]
	v_not_b32_e32 v2, v2
	v_ashrrev_i32_e32 v2, 31, v2
	v_and_b32_e32 v50, v50, v54
	v_xor_b32_e32 v54, vcc_hi, v2
	v_xor_b32_e32 v2, vcc_lo, v2
	v_and_b32_e32 v4, v4, v2
	v_lshlrev_b32_e32 v2, 28, v3
	v_cmp_gt_i64_e32 vcc, 0, v[1:2]
	v_not_b32_e32 v2, v2
	v_ashrrev_i32_e32 v2, 31, v2
	v_and_b32_e32 v50, v50, v54
	;; [unrolled: 8-line block ×5, first 2 shown]
	v_xor_b32_e32 v54, vcc_hi, v2
	v_xor_b32_e32 v2, vcc_lo, v2
	v_and_b32_e32 v4, v4, v2
	v_lshlrev_b32_e32 v2, 24, v3
	v_cmp_gt_i64_e32 vcc, 0, v[1:2]
	v_not_b32_e32 v2, v2
	v_ashrrev_i32_e32 v2, 31, v2
	v_xor_b32_e32 v3, vcc_hi, v2
	v_xor_b32_e32 v2, vcc_lo, v2
	; wave barrier
	ds_read_b32 v53, v23 offset:16
	v_and_b32_e32 v50, v50, v54
	v_and_b32_e32 v2, v4, v2
	;; [unrolled: 1-line block ×3, first 2 shown]
	v_mbcnt_lo_u32_b32 v4, v2, 0
	v_mbcnt_hi_u32_b32 v55, v3, v4
	v_cmp_ne_u64_e32 vcc, 0, v[2:3]
	v_cmp_eq_u32_e64 s[0:1], 0, v55
	s_and_b64 s[2:3], vcc, s[0:1]
	; wave barrier
	s_and_saveexec_b64 s[0:1], s[2:3]
	s_cbranch_execz .LBB15_175
; %bb.174:
	v_bcnt_u32_b32 v2, v2, 0
	v_bcnt_u32_b32 v2, v3, v2
	s_waitcnt lgkmcnt(0)
	v_add_u32_e32 v2, v53, v2
	ds_write_b32 v23, v2 offset:16
.LBB15_175:
	s_or_b64 exec, exec, s[0:1]
	v_not_b32_e32 v54, v17
	v_lshrrev_b32_e32 v2, s68, v54
	v_and_b32_e32 v3, s9, v2
	v_mul_lo_u32 v2, v3, 20
	v_and_b32_e32 v4, 1, v3
	; wave barrier
	v_lshl_add_u32 v17, v20, 2, v2
	v_add_co_u32_e32 v2, vcc, -1, v4
	v_addc_co_u32_e64 v20, s[0:1], 0, -1, vcc
	v_cmp_ne_u32_e32 vcc, 0, v4
	v_xor_b32_e32 v2, vcc_lo, v2
	v_xor_b32_e32 v4, vcc_hi, v20
	v_and_b32_e32 v20, exec_lo, v2
	v_lshlrev_b32_e32 v2, 30, v3
	v_cmp_gt_i64_e32 vcc, 0, v[1:2]
	v_not_b32_e32 v2, v2
	v_ashrrev_i32_e32 v2, 31, v2
	v_xor_b32_e32 v50, vcc_hi, v2
	v_xor_b32_e32 v2, vcc_lo, v2
	v_and_b32_e32 v20, v20, v2
	v_lshlrev_b32_e32 v2, 29, v3
	v_cmp_gt_i64_e32 vcc, 0, v[1:2]
	v_not_b32_e32 v2, v2
	v_and_b32_e32 v4, exec_hi, v4
	v_ashrrev_i32_e32 v2, 31, v2
	v_and_b32_e32 v4, v4, v50
	v_xor_b32_e32 v50, vcc_hi, v2
	v_xor_b32_e32 v2, vcc_lo, v2
	v_and_b32_e32 v20, v20, v2
	v_lshlrev_b32_e32 v2, 28, v3
	v_cmp_gt_i64_e32 vcc, 0, v[1:2]
	v_not_b32_e32 v2, v2
	v_ashrrev_i32_e32 v2, 31, v2
	v_and_b32_e32 v4, v4, v50
	v_xor_b32_e32 v50, vcc_hi, v2
	v_xor_b32_e32 v2, vcc_lo, v2
	v_and_b32_e32 v20, v20, v2
	v_lshlrev_b32_e32 v2, 27, v3
	v_cmp_gt_i64_e32 vcc, 0, v[1:2]
	v_not_b32_e32 v2, v2
	;; [unrolled: 8-line block ×5, first 2 shown]
	v_ashrrev_i32_e32 v1, 31, v1
	v_xor_b32_e32 v2, vcc_hi, v1
	v_xor_b32_e32 v1, vcc_lo, v1
	ds_read_b32 v56, v17 offset:16
	v_and_b32_e32 v4, v4, v50
	v_and_b32_e32 v1, v20, v1
	;; [unrolled: 1-line block ×3, first 2 shown]
	v_mbcnt_lo_u32_b32 v3, v1, 0
	v_mbcnt_hi_u32_b32 v57, v2, v3
	v_cmp_ne_u64_e32 vcc, 0, v[1:2]
	v_cmp_eq_u32_e64 s[0:1], 0, v57
	s_and_b64 s[2:3], vcc, s[0:1]
	; wave barrier
	s_and_saveexec_b64 s[0:1], s[2:3]
	s_cbranch_execz .LBB15_177
; %bb.176:
	v_bcnt_u32_b32 v1, v1, 0
	v_bcnt_u32_b32 v1, v2, v1
	s_waitcnt lgkmcnt(0)
	v_add_u32_e32 v1, v56, v1
	ds_write_b32 v17, v1 offset:16
.LBB15_177:
	s_or_b64 exec, exec, s[0:1]
	; wave barrier
	s_waitcnt lgkmcnt(0)
	s_barrier
	ds_read2_b32 v[3:4], v6 offset0:4 offset1:5
	ds_read2_b32 v[1:2], v6 offset0:6 offset1:7
	ds_read_b32 v20, v6 offset:32
	v_min_u32_e32 v9, 0xc0, v9
	v_or_b32_e32 v9, 63, v9
	s_waitcnt lgkmcnt(1)
	v_add3_u32 v50, v4, v3, v1
	s_waitcnt lgkmcnt(0)
	v_add3_u32 v20, v50, v2, v20
	v_and_b32_e32 v50, 15, v8
	v_cmp_ne_u32_e32 vcc, 0, v50
	v_mov_b32_dpp v58, v20 row_shr:1 row_mask:0xf bank_mask:0xf
	v_cndmask_b32_e32 v58, 0, v58, vcc
	v_add_u32_e32 v20, v58, v20
	v_cmp_lt_u32_e32 vcc, 1, v50
	s_nop 0
	v_mov_b32_dpp v58, v20 row_shr:2 row_mask:0xf bank_mask:0xf
	v_cndmask_b32_e32 v58, 0, v58, vcc
	v_add_u32_e32 v20, v20, v58
	v_cmp_lt_u32_e32 vcc, 3, v50
	s_nop 0
	;; [unrolled: 5-line block ×3, first 2 shown]
	v_mov_b32_dpp v58, v20 row_shr:8 row_mask:0xf bank_mask:0xf
	v_cndmask_b32_e32 v50, 0, v58, vcc
	v_add_u32_e32 v20, v20, v50
	v_bfe_i32 v58, v8, 4, 1
	v_cmp_lt_u32_e32 vcc, 31, v8
	v_mov_b32_dpp v50, v20 row_bcast:15 row_mask:0xf bank_mask:0xf
	v_and_b32_e32 v50, v58, v50
	v_add_u32_e32 v20, v20, v50
	v_lshrrev_b32_e32 v58, 6, v0
	s_nop 0
	v_mov_b32_dpp v50, v20 row_bcast:31 row_mask:0xf bank_mask:0xf
	v_cndmask_b32_e32 v50, 0, v50, vcc
	v_add_u32_e32 v20, v20, v50
	v_cmp_eq_u32_e32 vcc, v0, v9
	s_and_saveexec_b64 s[0:1], vcc
; %bb.178:
	v_lshlrev_b32_e32 v9, 2, v58
	ds_write_b32 v9, v20
; %bb.179:
	s_or_b64 exec, exec, s[0:1]
	v_cmp_gt_u32_e32 vcc, 4, v0
	v_lshlrev_b32_e32 v50, 2, v0
	s_waitcnt lgkmcnt(0)
	s_barrier
	s_and_saveexec_b64 s[0:1], vcc
	s_cbranch_execz .LBB15_181
; %bb.180:
	ds_read_b32 v9, v50
	v_and_b32_e32 v59, 3, v8
	v_cmp_ne_u32_e32 vcc, 0, v59
	s_waitcnt lgkmcnt(0)
	v_mov_b32_dpp v60, v9 row_shr:1 row_mask:0xf bank_mask:0xf
	v_cndmask_b32_e32 v60, 0, v60, vcc
	v_add_u32_e32 v9, v60, v9
	v_cmp_lt_u32_e32 vcc, 1, v59
	s_nop 0
	v_mov_b32_dpp v60, v9 row_shr:2 row_mask:0xf bank_mask:0xf
	v_cndmask_b32_e32 v59, 0, v60, vcc
	v_add_u32_e32 v9, v9, v59
	ds_write_b32 v50, v9
.LBB15_181:
	s_or_b64 exec, exec, s[0:1]
	v_cmp_lt_u32_e32 vcc, 63, v0
	v_mov_b32_e32 v9, 0
	s_waitcnt lgkmcnt(0)
	s_barrier
	s_and_saveexec_b64 s[0:1], vcc
; %bb.182:
	v_lshl_add_u32 v9, v58, 2, -4
	ds_read_b32 v9, v9
; %bb.183:
	s_or_b64 exec, exec, s[0:1]
	v_add_u32_e32 v58, -1, v8
	v_and_b32_e32 v59, 64, v8
	v_cmp_lt_i32_e32 vcc, v58, v59
	v_cndmask_b32_e32 v58, v58, v8, vcc
	s_waitcnt lgkmcnt(0)
	v_add_u32_e32 v20, v9, v20
	v_lshlrev_b32_e32 v58, 2, v58
	ds_bpermute_b32 v20, v58, v20
	v_cmp_eq_u32_e32 vcc, 0, v8
	s_movk_i32 s0, 0x100
	s_waitcnt lgkmcnt(0)
	v_cndmask_b32_e32 v9, v20, v9, vcc
	v_cmp_ne_u32_e32 vcc, 0, v0
	v_cndmask_b32_e32 v9, 0, v9, vcc
	v_add_u32_e32 v3, v9, v3
	v_add_u32_e32 v4, v3, v4
	;; [unrolled: 1-line block ×4, first 2 shown]
	ds_write2_b32 v6, v9, v3 offset0:4 offset1:5
	ds_write2_b32 v6, v4, v1 offset0:6 offset1:7
	ds_write_b32 v6, v2 offset:32
	s_waitcnt lgkmcnt(0)
	s_barrier
	ds_read_b32 v2, v43 offset:16
	ds_read_b32 v3, v46 offset:16
	;; [unrolled: 1-line block ×13, first 2 shown]
	v_add_u32_e32 v6, 1, v0
	v_cmp_ne_u32_e32 vcc, s0, v6
	v_mov_b32_e32 v1, 0xc00
	s_and_saveexec_b64 s[0:1], vcc
; %bb.184:
	v_mul_u32_u24_e32 v1, 20, v6
	ds_read_b32 v1, v1 offset:16
; %bb.185:
	s_or_b64 exec, exec, s[0:1]
	s_waitcnt lgkmcnt(7)
	v_add_u32_e32 v30, v10, v12
	s_waitcnt lgkmcnt(6)
	v_add3_u32 v25, v16, v13, v14
	s_waitcnt lgkmcnt(5)
	v_add3_u32 v23, v22, v18, v17
	v_add3_u32 v17, v44, v42, v2
	v_lshlrev_b32_e32 v2, 2, v30
	s_waitcnt lgkmcnt(0)
	s_barrier
	ds_write_b32 v2, v5 offset:2048
	v_lshlrev_b32_e32 v2, 2, v25
	v_add3_u32 v22, v27, v24, v19
	ds_write_b32 v2, v11 offset:2048
	v_lshlrev_b32_e32 v2, 2, v23
	v_add3_u32 v20, v32, v29, v20
	;; [unrolled: 3-line block ×4, first 2 shown]
	ds_write_b32 v2, v26 offset:2048
	v_lshlrev_b32_e32 v2, 2, v19
	ds_write_b32 v2, v31 offset:2048
	v_lshlrev_b32_e32 v2, 2, v18
	v_add3_u32 v16, v47, v45, v3
	ds_write_b32 v2, v36 offset:2048
	v_lshlrev_b32_e32 v2, 2, v17
	v_add3_u32 v14, v52, v48, v4
	;; [unrolled: 3-line block ×4, first 2 shown]
	ds_write_b32 v2, v28 offset:2048
	v_lshlrev_b32_e32 v2, 2, v13
	ds_write_b32 v2, v51 offset:2048
	v_lshlrev_b32_e32 v2, 2, v12
	ds_write_b32 v2, v54 offset:2048
	v_sub_u32_e32 v10, v1, v9
	v_lshl_or_b32 v1, s6, 8, v0
	v_mov_b32_e32 v2, 0
	v_lshlrev_b64 v[3:4], 2, v[1:2]
	v_mov_b32_e32 v11, s73
	v_add_co_u32_e32 v3, vcc, s72, v3
	v_addc_co_u32_e32 v4, vcc, v11, v4, vcc
	v_or_b32_e32 v1, 2.0, v10
	s_mov_b64 s[0:1], 0
	s_brev_b32 s10, -4
	v_mov_b32_e32 v15, 0
	s_waitcnt lgkmcnt(0)
	s_barrier
	global_store_dword v[3:4], v1, off
                                        ; implicit-def: $sgpr2_sgpr3
	s_branch .LBB15_188
.LBB15_186:                             ;   in Loop: Header=BB15_188 Depth=1
	s_or_b64 exec, exec, s[4:5]
.LBB15_187:                             ;   in Loop: Header=BB15_188 Depth=1
	s_or_b64 exec, exec, s[2:3]
	v_and_b32_e32 v5, 0x3fffffff, v1
	v_add_u32_e32 v15, v5, v15
	v_cmp_gt_i32_e64 s[2:3], -2.0, v1
	s_and_b64 s[4:5], exec, s[2:3]
	s_or_b64 s[0:1], s[4:5], s[0:1]
	s_andn2_b64 exec, exec, s[0:1]
	s_cbranch_execz .LBB15_193
.LBB15_188:                             ; =>This Loop Header: Depth=1
                                        ;     Child Loop BB15_191 Depth 2
	s_or_b64 s[2:3], s[2:3], exec
	s_cmp_eq_u32 s7, 0
	s_cbranch_scc1 .LBB15_192
; %bb.189:                              ;   in Loop: Header=BB15_188 Depth=1
	s_add_i32 s7, s7, -1
	v_lshl_or_b32 v1, s7, 8, v0
	v_lshlrev_b64 v[5:6], 2, v[1:2]
	v_add_co_u32_e32 v5, vcc, s72, v5
	v_addc_co_u32_e32 v6, vcc, v11, v6, vcc
	global_load_dword v1, v[5:6], off glc
	s_waitcnt vmcnt(0)
	v_cmp_gt_u32_e32 vcc, 2.0, v1
	s_and_saveexec_b64 s[2:3], vcc
	s_cbranch_execz .LBB15_187
; %bb.190:                              ;   in Loop: Header=BB15_188 Depth=1
	s_mov_b64 s[4:5], 0
.LBB15_191:                             ;   Parent Loop BB15_188 Depth=1
                                        ; =>  This Inner Loop Header: Depth=2
	global_load_dword v1, v[5:6], off glc
	s_waitcnt vmcnt(0)
	v_cmp_lt_u32_e32 vcc, s10, v1
	s_or_b64 s[4:5], vcc, s[4:5]
	s_andn2_b64 exec, exec, s[4:5]
	s_cbranch_execnz .LBB15_191
	s_branch .LBB15_186
.LBB15_192:                             ;   in Loop: Header=BB15_188 Depth=1
                                        ; implicit-def: $sgpr7
	s_and_b64 s[4:5], exec, s[2:3]
	s_or_b64 s[0:1], s[4:5], s[0:1]
	s_andn2_b64 exec, exec, s[0:1]
	s_cbranch_execnz .LBB15_188
.LBB15_193:
	s_or_b64 exec, exec, s[0:1]
	v_add_u32_e32 v2, v15, v10
	v_or_b32_e32 v2, 0x80000000, v2
	v_lshlrev_b32_e32 v1, 3, v0
	global_store_dword v[3:4], v2, off
	global_load_dwordx2 v[2:3], v1, s[64:65]
	v_sub_co_u32_e32 v4, vcc, v15, v9
	v_subb_co_u32_e64 v5, s[0:1], 0, 0, vcc
	v_sub_u32_e32 v24, v1, v50
	v_mov_b32_e32 v6, s59
	v_mov_b32_e32 v11, s59
	;; [unrolled: 1-line block ×4, first 2 shown]
	v_or_b32_e32 v57, 0x400, v0
	v_or_b32_e32 v66, 0x600, v0
	v_or_b32_e32 v67, 0x700, v0
	s_lshl_b64 s[0:1], s[54:55], 3
	s_add_u32 s0, s60, s0
	s_addc_u32 s1, s61, s1
	v_lshlrev_b32_e32 v7, 3, v7
	v_or_b32_e32 v68, 0x800, v0
	s_add_i32 s8, s8, -1
	s_cmp_lg_u32 s6, s8
	s_waitcnt vmcnt(0)
	v_add_co_u32_e32 v2, vcc, v4, v2
	v_addc_co_u32_e32 v3, vcc, v5, v3, vcc
	ds_write_b64 v1, v[2:3]
	s_waitcnt lgkmcnt(0)
	s_barrier
	ds_read2st64_b32 v[2:3], v24 offset0:8 offset1:12
	ds_read2st64_b32 v[4:5], v24 offset0:16 offset1:20
	;; [unrolled: 1-line block ×4, first 2 shown]
	s_waitcnt lgkmcnt(2)
	v_not_b32_e32 v39, v4
	v_lshrrev_b32_e32 v31, s68, v2
	v_not_b32_e32 v37, v2
	v_lshrrev_b32_e32 v2, s68, v3
	;; [unrolled: 2-line block ×3, first 2 shown]
	v_lshrrev_b32_e32 v4, s68, v5
	v_not_b32_e32 v40, v5
	s_waitcnt lgkmcnt(1)
	v_lshrrev_b32_e32 v5, s68, v26
	v_lshrrev_b32_e32 v32, s68, v27
	s_waitcnt lgkmcnt(0)
	v_lshrrev_b32_e32 v33, s68, v28
	v_lshrrev_b32_e32 v34, s68, v29
	v_and_b32_e32 v31, s9, v31
	v_and_b32_e32 v2, s9, v2
	;; [unrolled: 1-line block ×8, first 2 shown]
	v_lshlrev_b32_e32 v58, 3, v31
	v_lshlrev_b32_e32 v59, 3, v2
	v_lshlrev_b32_e32 v60, 3, v3
	v_lshlrev_b32_e32 v61, 3, v4
	v_lshlrev_b32_e32 v62, 3, v5
	v_lshlrev_b32_e32 v63, 3, v32
	v_lshlrev_b32_e32 v64, 3, v33
	v_lshlrev_b32_e32 v65, 3, v34
	ds_read_b64 v[2:3], v58
	ds_read_b64 v[4:5], v59
	;; [unrolled: 1-line block ×5, first 2 shown]
	s_waitcnt lgkmcnt(4)
	v_lshlrev_b64 v[2:3], 2, v[2:3]
	s_waitcnt lgkmcnt(3)
	v_lshlrev_b64 v[4:5], 2, v[4:5]
	v_add_co_u32_e32 v2, vcc, s58, v2
	v_addc_co_u32_e32 v3, vcc, v6, v3, vcc
	s_waitcnt lgkmcnt(2)
	v_lshlrev_b64 v[31:32], 2, v[31:32]
	v_add_co_u32_e32 v4, vcc, s58, v4
	v_addc_co_u32_e32 v5, vcc, v11, v5, vcc
	;; [unrolled: 4-line block ×3, first 2 shown]
	v_add_co_u32_e32 v15, vcc, s58, v33
	v_addc_co_u32_e32 v21, vcc, v21, v34, vcc
	v_add_co_u32_e32 v2, vcc, v2, v50
	v_addc_co_u32_e32 v3, vcc, 0, v3, vcc
	;; [unrolled: 2-line block ×5, first 2 shown]
	global_store_dword v[2:3], v37, off
	global_store_dword v[4:5], v38, off offset:1024
	global_store_dword v[31:32], v39, off offset:2048
	;; [unrolled: 1-line block ×3, first 2 shown]
	s_waitcnt lgkmcnt(0)
	v_lshlrev_b64 v[33:34], 2, v[35:36]
	ds_read_b64 v[2:3], v63
	ds_read_b64 v[4:5], v64
	;; [unrolled: 1-line block ×3, first 2 shown]
	v_mov_b32_e32 v6, s59
	v_add_co_u32_e32 v11, vcc, s58, v33
	v_addc_co_u32_e32 v6, vcc, v6, v34, vcc
	v_lshlrev_b32_e32 v15, 2, v57
	v_add_co_u32_e32 v33, vcc, v11, v15
	s_waitcnt lgkmcnt(2)
	v_lshlrev_b64 v[2:3], 2, v[2:3]
	v_addc_co_u32_e32 v34, vcc, 0, v6, vcc
	v_or_b32_e32 v21, 0x500, v0
	v_mov_b32_e32 v11, s59
	v_add_co_u32_e32 v2, vcc, s58, v2
	v_addc_co_u32_e32 v3, vcc, v11, v3, vcc
	v_lshlrev_b32_e32 v11, 2, v21
	v_add_co_u32_e32 v2, vcc, v2, v11
	v_not_b32_e32 v26, v26
	v_not_b32_e32 v6, v27
	v_addc_co_u32_e32 v3, vcc, 0, v3, vcc
	global_store_dword v[33:34], v26, off
	global_store_dword v[2:3], v6, off
	s_waitcnt lgkmcnt(1)
	v_lshlrev_b64 v[2:3], 2, v[4:5]
	v_mov_b32_e32 v4, s59
	v_add_co_u32_e32 v2, vcc, s58, v2
	v_addc_co_u32_e32 v3, vcc, v4, v3, vcc
	v_lshlrev_b32_e32 v4, 2, v66
	v_add_co_u32_e32 v2, vcc, v2, v4
	v_not_b32_e32 v6, v28
	v_addc_co_u32_e32 v3, vcc, 0, v3, vcc
	global_store_dword v[2:3], v6, off
	s_waitcnt lgkmcnt(0)
	v_lshlrev_b64 v[2:3], 2, v[31:32]
	v_mov_b32_e32 v4, s59
	v_add_co_u32_e32 v5, vcc, s58, v2
	v_addc_co_u32_e32 v11, vcc, v4, v3, vcc
	ds_read2st64_b32 v[2:3], v24 offset0:40 offset1:44
	v_lshlrev_b32_e32 v4, 2, v67
	v_add_co_u32_e32 v4, vcc, v5, v4
	v_not_b32_e32 v6, v29
	v_addc_co_u32_e32 v5, vcc, 0, v11, vcc
	global_store_dword v[4:5], v6, off
	s_waitcnt lgkmcnt(0)
	v_lshrrev_b32_e32 v4, s68, v2
	v_and_b32_e32 v6, s9, v4
	ds_read2st64_b32 v[4:5], v24 offset0:48 offset1:52
	v_lshlrev_b32_e32 v24, 3, v6
	v_lshrrev_b32_e32 v6, s68, v3
	v_and_b32_e32 v6, s9, v6
	v_lshlrev_b32_e32 v69, 3, v6
	s_waitcnt lgkmcnt(0)
	v_lshrrev_b32_e32 v6, s68, v4
	v_and_b32_e32 v6, s9, v6
	v_lshlrev_b32_e32 v70, 3, v6
	v_lshrrev_b32_e32 v6, s68, v5
	v_and_b32_e32 v11, s9, v6
	v_lshlrev_b32_e32 v6, 3, v8
	v_mov_b32_e32 v8, s1
	v_add_co_u32_e32 v6, vcc, s0, v6
	v_addc_co_u32_e32 v8, vcc, 0, v8, vcc
	v_add_co_u32_e32 v6, vcc, v6, v7
	v_addc_co_u32_e32 v7, vcc, 0, v8, vcc
	global_load_dwordx2 v[26:27], v[6:7], off
	s_movk_i32 s0, 0x1000
	global_load_dwordx2 v[28:29], v[6:7], off offset:512
	global_load_dwordx2 v[31:32], v[6:7], off offset:1024
	;; [unrolled: 1-line block ×7, first 2 shown]
	v_add_co_u32_e32 v6, vcc, s0, v6
	v_addc_co_u32_e32 v7, vcc, 0, v7, vcc
	global_load_dwordx2 v[43:44], v[6:7], off
	global_load_dwordx2 v[45:46], v[6:7], off offset:512
	v_lshlrev_b32_e32 v8, 3, v11
	ds_read_b64 v[47:48], v24
	ds_read_b64 v[49:50], v69
	;; [unrolled: 1-line block ×4, first 2 shown]
	global_load_dwordx2 v[55:56], v[6:7], off offset:1024
	s_waitcnt lgkmcnt(3)
	v_lshlrev_b64 v[47:48], 2, v[47:48]
	global_load_dwordx2 v[6:7], v[6:7], off offset:1536
	v_mov_b32_e32 v11, s59
	v_add_co_u32_e32 v15, vcc, s58, v47
	v_addc_co_u32_e32 v11, vcc, v11, v48, vcc
	v_lshlrev_b32_e32 v47, 2, v68
	v_add_co_u32_e32 v47, vcc, v15, v47
	v_not_b32_e32 v2, v2
	v_addc_co_u32_e32 v48, vcc, 0, v11, vcc
	global_store_dword v[47:48], v2, off
	v_not_b32_e32 v11, v3
	s_waitcnt lgkmcnt(2)
	v_lshlrev_b64 v[2:3], 2, v[49:50]
	v_or_b32_e32 v47, 0x900, v0
	v_mov_b32_e32 v15, s59
	v_add_co_u32_e32 v2, vcc, s58, v2
	v_addc_co_u32_e32 v3, vcc, v15, v3, vcc
	v_lshlrev_b32_e32 v15, 2, v47
	v_add_co_u32_e32 v2, vcc, v2, v15
	v_addc_co_u32_e32 v3, vcc, 0, v3, vcc
	global_store_dword v[2:3], v11, off
	s_waitcnt lgkmcnt(1)
	v_lshlrev_b64 v[2:3], 2, v[51:52]
	v_or_b32_e32 v48, 0xa00, v0
	v_mov_b32_e32 v11, s59
	v_add_co_u32_e32 v2, vcc, s58, v2
	v_addc_co_u32_e32 v3, vcc, v11, v3, vcc
	v_lshlrev_b32_e32 v11, 2, v48
	v_add_co_u32_e32 v2, vcc, v2, v11
	v_not_b32_e32 v4, v4
	v_addc_co_u32_e32 v3, vcc, 0, v3, vcc
	global_store_dword v[2:3], v4, off
	s_waitcnt lgkmcnt(0)
	v_lshlrev_b64 v[2:3], 2, v[53:54]
	v_or_b32_e32 v0, 0xb00, v0
	v_not_b32_e32 v4, v5
	v_mov_b32_e32 v5, s59
	v_add_co_u32_e32 v2, vcc, s58, v2
	v_addc_co_u32_e32 v3, vcc, v5, v3, vcc
	v_lshlrev_b32_e32 v5, 2, v0
	v_add_co_u32_e32 v2, vcc, v2, v5
	v_addc_co_u32_e32 v3, vcc, 0, v3, vcc
	global_store_dword v[2:3], v4, off
	v_lshlrev_b32_e32 v2, 3, v30
	s_waitcnt vmcnt(0)
	s_barrier
	v_lshlrev_b32_e32 v0, 3, v0
	ds_write_b64 v2, v[26:27] offset:2048
	v_lshlrev_b32_e32 v2, 3, v25
	ds_write_b64 v2, v[28:29] offset:2048
	;; [unrolled: 2-line block ×12, first 2 shown]
	s_waitcnt lgkmcnt(0)
	s_barrier
	ds_read_b64 v[6:7], v58
	ds_read2st64_b64 v[2:5], v1 offset0:4 offset1:8
	ds_read_b64 v[11:12], v59
	ds_read_b64 v[13:14], v60
	;; [unrolled: 1-line block ×3, first 2 shown]
	s_waitcnt lgkmcnt(4)
	v_lshlrev_b64 v[6:7], 3, v[6:7]
	v_mov_b32_e32 v17, s63
	v_add_co_u32_e32 v6, vcc, s62, v6
	v_addc_co_u32_e32 v7, vcc, v17, v7, vcc
	v_add_co_u32_e32 v6, vcc, v6, v1
	v_addc_co_u32_e32 v7, vcc, 0, v7, vcc
	s_waitcnt lgkmcnt(3)
	global_store_dwordx2 v[6:7], v[2:3], off
	s_waitcnt lgkmcnt(2)
	v_lshlrev_b64 v[2:3], 3, v[11:12]
	v_mov_b32_e32 v6, s63
	v_add_co_u32_e32 v2, vcc, s62, v2
	v_addc_co_u32_e32 v3, vcc, v6, v3, vcc
	v_add_co_u32_e32 v2, vcc, v2, v1
	v_addc_co_u32_e32 v3, vcc, 0, v3, vcc
	s_waitcnt lgkmcnt(1)
	v_lshlrev_b64 v[6:7], 3, v[13:14]
	global_store_dwordx2 v[2:3], v[4:5], off offset:2048
	ds_read2st64_b64 v[2:5], v1 offset0:12 offset1:16
	v_mov_b32_e32 v11, s63
	v_add_co_u32_e32 v6, vcc, s62, v6
	v_addc_co_u32_e32 v7, vcc, v11, v7, vcc
	v_or_b32_e32 v11, 0x1000, v1
	v_add_co_u32_e32 v6, vcc, v6, v11
	v_addc_co_u32_e32 v7, vcc, 0, v7, vcc
	s_waitcnt lgkmcnt(0)
	global_store_dwordx2 v[6:7], v[2:3], off
	v_lshlrev_b64 v[2:3], 3, v[15:16]
	v_mov_b32_e32 v6, s63
	v_add_co_u32_e32 v2, vcc, s62, v2
	v_addc_co_u32_e32 v3, vcc, v6, v3, vcc
	v_or_b32_e32 v6, 0x1800, v1
	v_add_co_u32_e32 v2, vcc, v2, v6
	v_addc_co_u32_e32 v3, vcc, 0, v3, vcc
	global_store_dwordx2 v[2:3], v[4:5], off
	ds_read_b64 v[6:7], v62
	ds_read2st64_b64 v[2:5], v1 offset0:20 offset1:24
	ds_read_b64 v[11:12], v63
	ds_read_b64 v[13:14], v64
	;; [unrolled: 1-line block ×3, first 2 shown]
	s_waitcnt lgkmcnt(4)
	v_lshlrev_b64 v[6:7], 3, v[6:7]
	v_add_co_u32_e32 v6, vcc, s62, v6
	v_addc_co_u32_e32 v7, vcc, v17, v7, vcc
	v_lshlrev_b32_e32 v17, 3, v57
	v_add_co_u32_e32 v6, vcc, v6, v17
	v_addc_co_u32_e32 v7, vcc, 0, v7, vcc
	s_waitcnt lgkmcnt(3)
	global_store_dwordx2 v[6:7], v[2:3], off
	s_waitcnt lgkmcnt(2)
	v_lshlrev_b64 v[2:3], 3, v[11:12]
	v_mov_b32_e32 v6, s63
	v_add_co_u32_e32 v2, vcc, s62, v2
	v_addc_co_u32_e32 v3, vcc, v6, v3, vcc
	v_lshlrev_b32_e32 v6, 3, v21
	v_add_co_u32_e32 v2, vcc, v2, v6
	v_addc_co_u32_e32 v3, vcc, 0, v3, vcc
	s_waitcnt lgkmcnt(1)
	v_lshlrev_b64 v[6:7], 3, v[13:14]
	global_store_dwordx2 v[2:3], v[4:5], off
	ds_read2st64_b64 v[2:5], v1 offset0:28 offset1:32
	v_mov_b32_e32 v11, s63
	v_add_co_u32_e32 v6, vcc, s62, v6
	v_addc_co_u32_e32 v7, vcc, v11, v7, vcc
	v_lshlrev_b32_e32 v11, 3, v66
	v_add_co_u32_e32 v6, vcc, v6, v11
	v_addc_co_u32_e32 v7, vcc, 0, v7, vcc
	s_waitcnt lgkmcnt(0)
	global_store_dwordx2 v[6:7], v[2:3], off
	v_lshlrev_b64 v[2:3], 3, v[15:16]
	v_mov_b32_e32 v6, s63
	v_add_co_u32_e32 v2, vcc, s62, v2
	v_addc_co_u32_e32 v3, vcc, v6, v3, vcc
	v_lshlrev_b32_e32 v6, 3, v67
	v_add_co_u32_e32 v2, vcc, v2, v6
	v_addc_co_u32_e32 v3, vcc, 0, v3, vcc
	global_store_dwordx2 v[2:3], v[4:5], off
	ds_read_b64 v[6:7], v24
	ds_read2st64_b64 v[2:5], v1 offset0:36 offset1:40
	ds_read_b64 v[11:12], v69
	ds_read_b64 v[13:14], v70
	;; [unrolled: 1-line block ×3, first 2 shown]
	s_waitcnt lgkmcnt(4)
	v_lshlrev_b64 v[6:7], 3, v[6:7]
	v_mov_b32_e32 v8, s63
	v_add_co_u32_e32 v6, vcc, s62, v6
	v_addc_co_u32_e32 v7, vcc, v8, v7, vcc
	v_lshlrev_b32_e32 v8, 3, v68
	v_add_co_u32_e32 v6, vcc, v6, v8
	v_addc_co_u32_e32 v7, vcc, 0, v7, vcc
	s_waitcnt lgkmcnt(3)
	global_store_dwordx2 v[6:7], v[2:3], off
	s_waitcnt lgkmcnt(2)
	v_lshlrev_b64 v[2:3], 3, v[11:12]
	v_mov_b32_e32 v6, s63
	v_add_co_u32_e32 v2, vcc, s62, v2
	v_addc_co_u32_e32 v3, vcc, v6, v3, vcc
	v_lshlrev_b32_e32 v6, 3, v47
	v_add_co_u32_e32 v2, vcc, v2, v6
	v_addc_co_u32_e32 v3, vcc, 0, v3, vcc
	s_waitcnt lgkmcnt(1)
	v_lshlrev_b64 v[6:7], 3, v[13:14]
	global_store_dwordx2 v[2:3], v[4:5], off
	ds_read2st64_b64 v[2:5], v1 offset0:44 offset1:48
	v_mov_b32_e32 v8, s63
	v_add_co_u32_e32 v6, vcc, s62, v6
	v_addc_co_u32_e32 v7, vcc, v8, v7, vcc
	v_lshlrev_b32_e32 v8, 3, v48
	v_add_co_u32_e32 v6, vcc, v6, v8
	v_addc_co_u32_e32 v7, vcc, 0, v7, vcc
	s_waitcnt lgkmcnt(0)
	global_store_dwordx2 v[6:7], v[2:3], off
	v_lshlrev_b64 v[2:3], 3, v[15:16]
	v_mov_b32_e32 v6, s63
	v_add_co_u32_e32 v2, vcc, s62, v2
	v_addc_co_u32_e32 v3, vcc, v6, v3, vcc
	v_add_co_u32_e32 v2, vcc, v2, v0
	v_addc_co_u32_e32 v3, vcc, 0, v3, vcc
	global_store_dwordx2 v[2:3], v[4:5], off
	s_cbranch_scc1 .LBB15_195
; %bb.194:
	ds_read_b64 v[2:3], v1
	v_add_co_u32_e32 v0, vcc, v10, v9
	v_addc_co_u32_e64 v4, s[0:1], 0, 0, vcc
	s_waitcnt lgkmcnt(0)
	v_add_co_u32_e32 v2, vcc, v0, v2
	v_addc_co_u32_e32 v3, vcc, v4, v3, vcc
	global_store_dwordx2 v1, v[2:3], s[66:67]
.LBB15_195:
	s_endpgm
.LBB15_196:
	s_or_b64 exec, exec, s[0:1]
	s_and_saveexec_b64 s[0:1], s[26:27]
	s_cbranch_execz .LBB15_139
.LBB15_197:
	v_lshlrev_b32_e32 v3, 3, v62
	ds_read_b64 v[3:4], v3
	ds_read_b64 v[5:6], v32 offset:4096
	v_mov_b32_e32 v7, s63
	s_waitcnt lgkmcnt(1)
	v_lshlrev_b64 v[3:4], 3, v[3:4]
	v_add_co_u32_e32 v3, vcc, s62, v3
	v_addc_co_u32_e32 v4, vcc, v7, v4, vcc
	v_add_co_u32_e32 v3, vcc, v3, v32
	v_addc_co_u32_e32 v4, vcc, 0, v4, vcc
	s_waitcnt lgkmcnt(0)
	global_store_dwordx2 v[3:4], v[5:6], off offset:2048
	s_or_b64 exec, exec, s[0:1]
	s_and_saveexec_b64 s[0:1], s[28:29]
	s_cbranch_execnz .LBB15_140
.LBB15_198:
	s_or_b64 exec, exec, s[0:1]
	s_and_saveexec_b64 s[0:1], s[30:31]
	s_cbranch_execz .LBB15_141
.LBB15_199:
	v_lshlrev_b32_e32 v3, 3, v60
	ds_read_b64 v[3:4], v3
	ds_read_b64 v[5:6], v32 offset:8192
	v_mov_b32_e32 v7, s63
	s_waitcnt lgkmcnt(1)
	v_lshlrev_b64 v[3:4], 3, v[3:4]
	v_add_co_u32_e32 v3, vcc, s62, v3
	v_addc_co_u32_e32 v4, vcc, v7, v4, vcc
	v_lshlrev_b32_e32 v7, 3, v46
	v_add_co_u32_e32 v3, vcc, v3, v7
	v_addc_co_u32_e32 v4, vcc, 0, v4, vcc
	s_waitcnt lgkmcnt(0)
	global_store_dwordx2 v[3:4], v[5:6], off
	s_or_b64 exec, exec, s[0:1]
	s_and_saveexec_b64 s[0:1], s[34:35]
	s_cbranch_execnz .LBB15_142
.LBB15_200:
	s_or_b64 exec, exec, s[0:1]
	s_and_saveexec_b64 s[0:1], s[36:37]
	s_cbranch_execz .LBB15_143
.LBB15_201:
	v_lshlrev_b32_e32 v3, 3, v58
	ds_read_b64 v[3:4], v3
	ds_read_b64 v[5:6], v32 offset:12288
	v_mov_b32_e32 v7, s63
	s_waitcnt lgkmcnt(1)
	v_lshlrev_b64 v[3:4], 3, v[3:4]
	v_add_co_u32_e32 v3, vcc, s62, v3
	v_addc_co_u32_e32 v4, vcc, v7, v4, vcc
	v_lshlrev_b32_e32 v7, 3, v48
	v_add_co_u32_e32 v3, vcc, v3, v7
	v_addc_co_u32_e32 v4, vcc, 0, v4, vcc
	s_waitcnt lgkmcnt(0)
	global_store_dwordx2 v[3:4], v[5:6], off
	s_or_b64 exec, exec, s[0:1]
	s_and_saveexec_b64 s[0:1], s[38:39]
	s_cbranch_execnz .LBB15_144
.LBB15_202:
	s_or_b64 exec, exec, s[0:1]
	s_and_saveexec_b64 s[0:1], s[40:41]
	s_cbranch_execz .LBB15_145
.LBB15_203:
	v_lshlrev_b32_e32 v3, 3, v56
	ds_read_b64 v[3:4], v3
	ds_read_b64 v[5:6], v32 offset:16384
	v_mov_b32_e32 v7, s63
	s_waitcnt lgkmcnt(1)
	v_lshlrev_b64 v[3:4], 3, v[3:4]
	v_add_co_u32_e32 v3, vcc, s62, v3
	v_addc_co_u32_e32 v4, vcc, v7, v4, vcc
	v_lshlrev_b32_e32 v7, 3, v50
	v_add_co_u32_e32 v3, vcc, v3, v7
	v_addc_co_u32_e32 v4, vcc, 0, v4, vcc
	s_waitcnt lgkmcnt(0)
	global_store_dwordx2 v[3:4], v[5:6], off
	s_or_b64 exec, exec, s[0:1]
	s_and_saveexec_b64 s[0:1], s[42:43]
	s_cbranch_execnz .LBB15_146
.LBB15_204:
	s_or_b64 exec, exec, s[0:1]
	s_and_saveexec_b64 s[0:1], s[44:45]
	s_cbranch_execz .LBB15_147
.LBB15_205:
	v_lshlrev_b32_e32 v3, 3, v28
	ds_read_b64 v[3:4], v3
	ds_read_b64 v[5:6], v32 offset:20480
	v_mov_b32_e32 v7, s63
	s_waitcnt lgkmcnt(1)
	v_lshlrev_b64 v[3:4], 3, v[3:4]
	v_add_co_u32_e32 v3, vcc, s62, v3
	v_addc_co_u32_e32 v4, vcc, v7, v4, vcc
	v_lshlrev_b32_e32 v7, 3, v52
	v_add_co_u32_e32 v3, vcc, v3, v7
	v_addc_co_u32_e32 v4, vcc, 0, v4, vcc
	s_waitcnt lgkmcnt(0)
	global_store_dwordx2 v[3:4], v[5:6], off
	s_or_b64 exec, exec, s[0:1]
	s_and_saveexec_b64 s[0:1], s[46:47]
	s_cbranch_execnz .LBB15_148
.LBB15_206:
	s_or_b64 exec, exec, s[0:1]
	s_and_saveexec_b64 s[0:1], s[48:49]
	s_cbranch_execz .LBB15_149
.LBB15_207:
	v_lshlrev_b32_e32 v3, 3, v27
	ds_read_b64 v[3:4], v3
	ds_read_b64 v[5:6], v32 offset:24576
	v_mov_b32_e32 v7, s63
	s_waitcnt lgkmcnt(1)
	v_lshlrev_b64 v[3:4], 3, v[3:4]
	v_add_co_u32_e32 v3, vcc, s62, v3
	v_addc_co_u32_e32 v4, vcc, v7, v4, vcc
	v_lshlrev_b32_e32 v7, 3, v54
	v_add_co_u32_e32 v3, vcc, v3, v7
	v_addc_co_u32_e32 v4, vcc, 0, v4, vcc
	s_waitcnt lgkmcnt(0)
	global_store_dwordx2 v[3:4], v[5:6], off
	s_or_b64 exec, exec, s[0:1]
	s_add_i32 s33, s33, -1
	s_cmp_eq_u32 s6, s33
	s_cbranch_scc1 .LBB15_150
	s_branch .LBB15_151
	.section	.rodata,"a",@progbits
	.p2align	6, 0x0
	.amdhsa_kernel _ZN7rocprim17ROCPRIM_304000_NS6detail25onesweep_iteration_kernelINS1_34wrapped_radix_sort_onesweep_configINS0_14default_configEjN2at4cuda3cub6detail10OpaqueTypeILi8EEEEELb1EPjSC_PSA_SD_mNS0_19identity_decomposerEEEvT1_T2_T3_T4_jPT5_SK_PNS1_23onesweep_lookback_stateET6_jjj
		.amdhsa_group_segment_fixed_size 26624
		.amdhsa_private_segment_fixed_size 0
		.amdhsa_kernarg_size 336
		.amdhsa_user_sgpr_count 6
		.amdhsa_user_sgpr_private_segment_buffer 1
		.amdhsa_user_sgpr_dispatch_ptr 0
		.amdhsa_user_sgpr_queue_ptr 0
		.amdhsa_user_sgpr_kernarg_segment_ptr 1
		.amdhsa_user_sgpr_dispatch_id 0
		.amdhsa_user_sgpr_flat_scratch_init 0
		.amdhsa_user_sgpr_private_segment_size 0
		.amdhsa_uses_dynamic_stack 0
		.amdhsa_system_sgpr_private_segment_wavefront_offset 0
		.amdhsa_system_sgpr_workgroup_id_x 1
		.amdhsa_system_sgpr_workgroup_id_y 0
		.amdhsa_system_sgpr_workgroup_id_z 0
		.amdhsa_system_sgpr_workgroup_info 0
		.amdhsa_system_vgpr_workitem_id 2
		.amdhsa_next_free_vgpr 85
		.amdhsa_next_free_sgpr 98
		.amdhsa_reserve_vcc 1
		.amdhsa_reserve_flat_scratch 0
		.amdhsa_float_round_mode_32 0
		.amdhsa_float_round_mode_16_64 0
		.amdhsa_float_denorm_mode_32 3
		.amdhsa_float_denorm_mode_16_64 3
		.amdhsa_dx10_clamp 1
		.amdhsa_ieee_mode 1
		.amdhsa_fp16_overflow 0
		.amdhsa_exception_fp_ieee_invalid_op 0
		.amdhsa_exception_fp_denorm_src 0
		.amdhsa_exception_fp_ieee_div_zero 0
		.amdhsa_exception_fp_ieee_overflow 0
		.amdhsa_exception_fp_ieee_underflow 0
		.amdhsa_exception_fp_ieee_inexact 0
		.amdhsa_exception_int_div_zero 0
	.end_amdhsa_kernel
	.section	.text._ZN7rocprim17ROCPRIM_304000_NS6detail25onesweep_iteration_kernelINS1_34wrapped_radix_sort_onesweep_configINS0_14default_configEjN2at4cuda3cub6detail10OpaqueTypeILi8EEEEELb1EPjSC_PSA_SD_mNS0_19identity_decomposerEEEvT1_T2_T3_T4_jPT5_SK_PNS1_23onesweep_lookback_stateET6_jjj,"axG",@progbits,_ZN7rocprim17ROCPRIM_304000_NS6detail25onesweep_iteration_kernelINS1_34wrapped_radix_sort_onesweep_configINS0_14default_configEjN2at4cuda3cub6detail10OpaqueTypeILi8EEEEELb1EPjSC_PSA_SD_mNS0_19identity_decomposerEEEvT1_T2_T3_T4_jPT5_SK_PNS1_23onesweep_lookback_stateET6_jjj,comdat
.Lfunc_end15:
	.size	_ZN7rocprim17ROCPRIM_304000_NS6detail25onesweep_iteration_kernelINS1_34wrapped_radix_sort_onesweep_configINS0_14default_configEjN2at4cuda3cub6detail10OpaqueTypeILi8EEEEELb1EPjSC_PSA_SD_mNS0_19identity_decomposerEEEvT1_T2_T3_T4_jPT5_SK_PNS1_23onesweep_lookback_stateET6_jjj, .Lfunc_end15-_ZN7rocprim17ROCPRIM_304000_NS6detail25onesweep_iteration_kernelINS1_34wrapped_radix_sort_onesweep_configINS0_14default_configEjN2at4cuda3cub6detail10OpaqueTypeILi8EEEEELb1EPjSC_PSA_SD_mNS0_19identity_decomposerEEEvT1_T2_T3_T4_jPT5_SK_PNS1_23onesweep_lookback_stateET6_jjj
                                        ; -- End function
	.set _ZN7rocprim17ROCPRIM_304000_NS6detail25onesweep_iteration_kernelINS1_34wrapped_radix_sort_onesweep_configINS0_14default_configEjN2at4cuda3cub6detail10OpaqueTypeILi8EEEEELb1EPjSC_PSA_SD_mNS0_19identity_decomposerEEEvT1_T2_T3_T4_jPT5_SK_PNS1_23onesweep_lookback_stateET6_jjj.num_vgpr, 71
	.set _ZN7rocprim17ROCPRIM_304000_NS6detail25onesweep_iteration_kernelINS1_34wrapped_radix_sort_onesweep_configINS0_14default_configEjN2at4cuda3cub6detail10OpaqueTypeILi8EEEEELb1EPjSC_PSA_SD_mNS0_19identity_decomposerEEEvT1_T2_T3_T4_jPT5_SK_PNS1_23onesweep_lookback_stateET6_jjj.num_agpr, 0
	.set _ZN7rocprim17ROCPRIM_304000_NS6detail25onesweep_iteration_kernelINS1_34wrapped_radix_sort_onesweep_configINS0_14default_configEjN2at4cuda3cub6detail10OpaqueTypeILi8EEEEELb1EPjSC_PSA_SD_mNS0_19identity_decomposerEEEvT1_T2_T3_T4_jPT5_SK_PNS1_23onesweep_lookback_stateET6_jjj.numbered_sgpr, 75
	.set _ZN7rocprim17ROCPRIM_304000_NS6detail25onesweep_iteration_kernelINS1_34wrapped_radix_sort_onesweep_configINS0_14default_configEjN2at4cuda3cub6detail10OpaqueTypeILi8EEEEELb1EPjSC_PSA_SD_mNS0_19identity_decomposerEEEvT1_T2_T3_T4_jPT5_SK_PNS1_23onesweep_lookback_stateET6_jjj.num_named_barrier, 0
	.set _ZN7rocprim17ROCPRIM_304000_NS6detail25onesweep_iteration_kernelINS1_34wrapped_radix_sort_onesweep_configINS0_14default_configEjN2at4cuda3cub6detail10OpaqueTypeILi8EEEEELb1EPjSC_PSA_SD_mNS0_19identity_decomposerEEEvT1_T2_T3_T4_jPT5_SK_PNS1_23onesweep_lookback_stateET6_jjj.private_seg_size, 0
	.set _ZN7rocprim17ROCPRIM_304000_NS6detail25onesweep_iteration_kernelINS1_34wrapped_radix_sort_onesweep_configINS0_14default_configEjN2at4cuda3cub6detail10OpaqueTypeILi8EEEEELb1EPjSC_PSA_SD_mNS0_19identity_decomposerEEEvT1_T2_T3_T4_jPT5_SK_PNS1_23onesweep_lookback_stateET6_jjj.uses_vcc, 1
	.set _ZN7rocprim17ROCPRIM_304000_NS6detail25onesweep_iteration_kernelINS1_34wrapped_radix_sort_onesweep_configINS0_14default_configEjN2at4cuda3cub6detail10OpaqueTypeILi8EEEEELb1EPjSC_PSA_SD_mNS0_19identity_decomposerEEEvT1_T2_T3_T4_jPT5_SK_PNS1_23onesweep_lookback_stateET6_jjj.uses_flat_scratch, 0
	.set _ZN7rocprim17ROCPRIM_304000_NS6detail25onesweep_iteration_kernelINS1_34wrapped_radix_sort_onesweep_configINS0_14default_configEjN2at4cuda3cub6detail10OpaqueTypeILi8EEEEELb1EPjSC_PSA_SD_mNS0_19identity_decomposerEEEvT1_T2_T3_T4_jPT5_SK_PNS1_23onesweep_lookback_stateET6_jjj.has_dyn_sized_stack, 0
	.set _ZN7rocprim17ROCPRIM_304000_NS6detail25onesweep_iteration_kernelINS1_34wrapped_radix_sort_onesweep_configINS0_14default_configEjN2at4cuda3cub6detail10OpaqueTypeILi8EEEEELb1EPjSC_PSA_SD_mNS0_19identity_decomposerEEEvT1_T2_T3_T4_jPT5_SK_PNS1_23onesweep_lookback_stateET6_jjj.has_recursion, 0
	.set _ZN7rocprim17ROCPRIM_304000_NS6detail25onesweep_iteration_kernelINS1_34wrapped_radix_sort_onesweep_configINS0_14default_configEjN2at4cuda3cub6detail10OpaqueTypeILi8EEEEELb1EPjSC_PSA_SD_mNS0_19identity_decomposerEEEvT1_T2_T3_T4_jPT5_SK_PNS1_23onesweep_lookback_stateET6_jjj.has_indirect_call, 0
	.section	.AMDGPU.csdata,"",@progbits
; Kernel info:
; codeLenInByte = 18824
; TotalNumSgprs: 79
; NumVgprs: 71
; ScratchSize: 0
; MemoryBound: 0
; FloatMode: 240
; IeeeMode: 1
; LDSByteSize: 26624 bytes/workgroup (compile time only)
; SGPRBlocks: 12
; VGPRBlocks: 21
; NumSGPRsForWavesPerEU: 102
; NumVGPRsForWavesPerEU: 85
; Occupancy: 2
; WaveLimiterHint : 1
; COMPUTE_PGM_RSRC2:SCRATCH_EN: 0
; COMPUTE_PGM_RSRC2:USER_SGPR: 6
; COMPUTE_PGM_RSRC2:TRAP_HANDLER: 0
; COMPUTE_PGM_RSRC2:TGID_X_EN: 1
; COMPUTE_PGM_RSRC2:TGID_Y_EN: 0
; COMPUTE_PGM_RSRC2:TGID_Z_EN: 0
; COMPUTE_PGM_RSRC2:TIDIG_COMP_CNT: 2
	.section	.text._ZN7rocprim17ROCPRIM_304000_NS6detail28radix_sort_block_sort_kernelINS1_36wrapped_radix_sort_block_sort_configINS0_13kernel_configILj256ELj4ELj4294967295EEEjN2at4cuda3cub6detail10OpaqueTypeILi8EEEEELb0EPKjPjPKSB_PSB_NS0_19identity_decomposerEEEvT1_T2_T3_T4_jT5_jj,"axG",@progbits,_ZN7rocprim17ROCPRIM_304000_NS6detail28radix_sort_block_sort_kernelINS1_36wrapped_radix_sort_block_sort_configINS0_13kernel_configILj256ELj4ELj4294967295EEEjN2at4cuda3cub6detail10OpaqueTypeILi8EEEEELb0EPKjPjPKSB_PSB_NS0_19identity_decomposerEEEvT1_T2_T3_T4_jT5_jj,comdat
	.protected	_ZN7rocprim17ROCPRIM_304000_NS6detail28radix_sort_block_sort_kernelINS1_36wrapped_radix_sort_block_sort_configINS0_13kernel_configILj256ELj4ELj4294967295EEEjN2at4cuda3cub6detail10OpaqueTypeILi8EEEEELb0EPKjPjPKSB_PSB_NS0_19identity_decomposerEEEvT1_T2_T3_T4_jT5_jj ; -- Begin function _ZN7rocprim17ROCPRIM_304000_NS6detail28radix_sort_block_sort_kernelINS1_36wrapped_radix_sort_block_sort_configINS0_13kernel_configILj256ELj4ELj4294967295EEEjN2at4cuda3cub6detail10OpaqueTypeILi8EEEEELb0EPKjPjPKSB_PSB_NS0_19identity_decomposerEEEvT1_T2_T3_T4_jT5_jj
	.globl	_ZN7rocprim17ROCPRIM_304000_NS6detail28radix_sort_block_sort_kernelINS1_36wrapped_radix_sort_block_sort_configINS0_13kernel_configILj256ELj4ELj4294967295EEEjN2at4cuda3cub6detail10OpaqueTypeILi8EEEEELb0EPKjPjPKSB_PSB_NS0_19identity_decomposerEEEvT1_T2_T3_T4_jT5_jj
	.p2align	8
	.type	_ZN7rocprim17ROCPRIM_304000_NS6detail28radix_sort_block_sort_kernelINS1_36wrapped_radix_sort_block_sort_configINS0_13kernel_configILj256ELj4ELj4294967295EEEjN2at4cuda3cub6detail10OpaqueTypeILi8EEEEELb0EPKjPjPKSB_PSB_NS0_19identity_decomposerEEEvT1_T2_T3_T4_jT5_jj,@function
_ZN7rocprim17ROCPRIM_304000_NS6detail28radix_sort_block_sort_kernelINS1_36wrapped_radix_sort_block_sort_configINS0_13kernel_configILj256ELj4ELj4294967295EEEjN2at4cuda3cub6detail10OpaqueTypeILi8EEEEELb0EPKjPjPKSB_PSB_NS0_19identity_decomposerEEEvT1_T2_T3_T4_jT5_jj: ; @_ZN7rocprim17ROCPRIM_304000_NS6detail28radix_sort_block_sort_kernelINS1_36wrapped_radix_sort_block_sort_configINS0_13kernel_configILj256ELj4ELj4294967295EEEjN2at4cuda3cub6detail10OpaqueTypeILi8EEEEELb0EPKjPjPKSB_PSB_NS0_19identity_decomposerEEEvT1_T2_T3_T4_jT5_jj
; %bb.0:
	s_load_dword s2, s[4:5], 0x20
	s_load_dwordx8 s[36:43], s[4:5], 0x0
	s_lshl_b32 s28, s6, 10
	s_mov_b32 s29, 0
	v_mbcnt_lo_u32_b32 v3, -1, 0
	s_waitcnt lgkmcnt(0)
	s_lshr_b32 s0, s2, 10
	s_cmp_lg_u32 s6, s0
	s_cselect_b64 s[30:31], -1, 0
	s_lshl_b64 s[34:35], s[28:29], 2
	s_add_u32 s1, s36, s34
	v_mbcnt_hi_u32_b32 v9, -1, v3
	s_addc_u32 s3, s37, s35
	v_lshlrev_b32_e32 v30, 2, v0
	v_lshlrev_b32_e32 v3, 2, v9
	v_and_b32_e32 v10, 0x300, v30
	v_mov_b32_e32 v4, s3
	v_add_co_u32_e32 v3, vcc, s1, v3
	v_addc_co_u32_e32 v4, vcc, 0, v4, vcc
	v_lshlrev_b32_e32 v5, 2, v10
	v_add_co_u32_e32 v3, vcc, v3, v5
	s_cmp_eq_u32 s6, s0
	v_addc_co_u32_e32 v4, vcc, 0, v4, vcc
	v_lshlrev_b32_e32 v15, 3, v9
	v_lshlrev_b32_e32 v14, 3, v10
	v_add_u32_e32 v11, v9, v10
	s_cbranch_scc1 .LBB16_2
; %bb.1:
	s_lshl_b64 s[0:1], s[28:29], 3
	s_add_u32 s0, s40, s0
	s_addc_u32 s1, s41, s1
	v_mov_b32_e32 v12, s1
	v_add_co_u32_e32 v13, vcc, s0, v15
	v_addc_co_u32_e32 v16, vcc, 0, v12, vcc
	v_add_co_u32_e32 v12, vcc, v13, v14
	v_addc_co_u32_e32 v13, vcc, 0, v16, vcc
	global_load_dword v5, v[3:4], off
	global_load_dword v6, v[3:4], off offset:256
	global_load_dword v7, v[3:4], off offset:512
	;; [unrolled: 1-line block ×3, first 2 shown]
	global_load_dwordx2 v[22:23], v[12:13], off
	global_load_dwordx2 v[24:25], v[12:13], off offset:512
	global_load_dwordx2 v[26:27], v[12:13], off offset:1024
	;; [unrolled: 1-line block ×3, first 2 shown]
	v_add_u32_e32 v16, v9, v10
	v_add_u32_e32 v10, 64, v16
	;; [unrolled: 1-line block ×4, first 2 shown]
	s_sub_i32 s33, s2, s28
	s_cbranch_execz .LBB16_3
	s_branch .LBB16_17
.LBB16_2:
                                        ; implicit-def: $vgpr5_vgpr6_vgpr7_vgpr8
                                        ; implicit-def: $vgpr22_vgpr23
                                        ; implicit-def: $vgpr24_vgpr25
                                        ; implicit-def: $vgpr26_vgpr27
                                        ; implicit-def: $vgpr28_vgpr29
                                        ; implicit-def: $vgpr16
                                        ; implicit-def: $vgpr10
                                        ; implicit-def: $vgpr12
                                        ; implicit-def: $vgpr13
	s_sub_i32 s33, s2, s28
.LBB16_3:
	s_waitcnt vmcnt(7)
	v_mov_b32_e32 v5, -1
	v_cmp_gt_u32_e32 vcc, s33, v11
	s_waitcnt vmcnt(6)
	v_mov_b32_e32 v6, v5
	s_waitcnt vmcnt(5)
	v_mov_b32_e32 v7, v5
	;; [unrolled: 2-line block ×3, first 2 shown]
	s_and_saveexec_b64 s[0:1], vcc
	s_cbranch_execz .LBB16_5
; %bb.4:
	global_load_dword v16, v[3:4], off
	v_mov_b32_e32 v17, v5
	v_mov_b32_e32 v18, v5
	;; [unrolled: 1-line block ×3, first 2 shown]
	s_waitcnt vmcnt(0)
	v_mov_b32_e32 v5, v16
	v_mov_b32_e32 v6, v17
	;; [unrolled: 1-line block ×4, first 2 shown]
.LBB16_5:
	s_or_b64 exec, exec, s[0:1]
	v_add_u32_e32 v10, 64, v11
	v_cmp_gt_u32_e64 s[0:1], s33, v10
	s_and_saveexec_b64 s[2:3], s[0:1]
	s_cbranch_execz .LBB16_7
; %bb.6:
	global_load_dword v6, v[3:4], off offset:256
.LBB16_7:
	s_or_b64 exec, exec, s[2:3]
	v_add_u32_e32 v12, 0x80, v11
	v_cmp_gt_u32_e64 s[2:3], s33, v12
	s_and_saveexec_b64 s[6:7], s[2:3]
	s_cbranch_execz .LBB16_9
; %bb.8:
	global_load_dword v7, v[3:4], off offset:512
.LBB16_9:
	;; [unrolled: 8-line block ×3, first 2 shown]
	s_or_b64 exec, exec, s[8:9]
	s_lshl_b64 s[8:9], s[28:29], 3
	s_add_u32 s8, s40, s8
	s_addc_u32 s9, s41, s9
	v_mov_b32_e32 v3, s9
	v_add_co_u32_e64 v4, s[8:9], s8, v15
	v_addc_co_u32_e64 v15, s[8:9], 0, v3, s[8:9]
	v_add_co_u32_e64 v3, s[8:9], v4, v14
	v_addc_co_u32_e64 v4, s[8:9], 0, v15, s[8:9]
                                        ; implicit-def: $vgpr22_vgpr23
	s_and_saveexec_b64 s[8:9], vcc
	s_cbranch_execnz .LBB16_54
; %bb.12:
	s_or_b64 exec, exec, s[8:9]
                                        ; implicit-def: $vgpr24_vgpr25
	s_and_saveexec_b64 s[8:9], s[0:1]
	s_cbranch_execnz .LBB16_55
.LBB16_13:
	s_or_b64 exec, exec, s[8:9]
                                        ; implicit-def: $vgpr26_vgpr27
	s_and_saveexec_b64 s[0:1], s[2:3]
	s_cbranch_execnz .LBB16_56
.LBB16_14:
	s_or_b64 exec, exec, s[0:1]
                                        ; implicit-def: $vgpr28_vgpr29
	s_and_saveexec_b64 s[0:1], s[6:7]
	s_cbranch_execz .LBB16_16
.LBB16_15:
	global_load_dwordx2 v[28:29], v[3:4], off offset:1536
.LBB16_16:
	s_or_b64 exec, exec, s[0:1]
	v_mov_b32_e32 v16, v11
.LBB16_17:
	s_load_dword s0, s[4:5], 0x3c
	s_load_dwordx2 s[36:37], s[4:5], 0x28
	s_mov_b32 s26, 0
	s_mov_b32 s44, s26
	v_lshlrev_b32_e32 v37, 2, v16
	s_waitcnt lgkmcnt(0)
	s_lshr_b32 s1, s0, 16
	s_and_b32 s0, s0, 0xffff
	v_mad_u32_u24 v1, v2, s1, v1
	v_mad_u64_u32 v[1:2], s[0:1], v1, s0, v[0:1]
	v_and_b32_e32 v2, 15, v9
	v_cmp_eq_u32_e64 s[0:1], 0, v2
	v_lshrrev_b32_e32 v1, 4, v1
	v_and_b32_e32 v32, 0xffffffc, v1
	v_and_b32_e32 v1, 16, v9
	v_cmp_eq_u32_e64 s[8:9], 0, v1
	v_or_b32_e32 v1, 63, v0
	v_cmp_lt_u32_e64 s[2:3], 1, v2
	v_cmp_lt_u32_e64 s[4:5], 3, v2
	;; [unrolled: 1-line block ×3, first 2 shown]
	v_cmp_eq_u32_e64 s[12:13], v0, v1
	v_subrev_co_u32_e64 v1, s[18:19], 1, v9
	v_and_b32_e32 v2, 64, v9
	v_cmp_lt_i32_e32 vcc, v1, v2
	v_cndmask_b32_e32 v1, v1, v9, vcc
	v_lshlrev_b32_e32 v34, 2, v1
	v_lshrrev_b32_e32 v1, 4, v0
	v_and_b32_e32 v35, 12, v1
	v_and_b32_e32 v1, 3, v9
	v_lshlrev_b32_e32 v38, 2, v10
	v_lshlrev_b32_e32 v39, 2, v12
	;; [unrolled: 1-line block ×3, first 2 shown]
	s_mov_b32 s27, s26
	s_mov_b32 s45, s26
	v_mov_b32_e32 v17, s26
	v_mov_b32_e32 v19, s44
	v_lshlrev_b32_e32 v31, 2, v30
	s_add_i32 s40, s37, s36
	v_cmp_lt_u32_e64 s[10:11], 31, v9
	v_cmp_gt_u32_e64 s[14:15], 4, v0
	v_cmp_lt_u32_e64 s[16:17], 63, v0
	v_cmp_eq_u32_e64 s[20:21], 0, v0
	v_mul_i32_i24_e32 v33, -12, v0
	v_cmp_eq_u32_e64 s[22:23], 0, v1
	v_cmp_lt_u32_e64 s[24:25], 1, v1
	v_add_u32_e32 v36, -4, v35
	v_mov_b32_e32 v18, s27
	v_mov_b32_e32 v20, s45
	;; [unrolled: 1-line block ×3, first 2 shown]
	v_add_u32_e32 v41, v37, v37
	v_add_u32_e32 v42, v38, v38
	;; [unrolled: 1-line block ×4, first 2 shown]
	s_branch .LBB16_19
.LBB16_18:                              ;   in Loop: Header=BB16_19 Depth=1
	s_andn2_b64 vcc, exec, s[26:27]
	s_cbranch_vccz .LBB16_35
.LBB16_19:                              ; =>This Inner Loop Header: Depth=1
	s_min_u32 s26, s37, 8
	s_waitcnt vmcnt(0)
	v_mov_b32_e32 v1, v5
	s_lshl_b32 s26, -1, s26
	v_mov_b32_e32 v2, v6
	v_mov_b32_e32 v3, v7
	;; [unrolled: 1-line block ×3, first 2 shown]
	s_not_b32 s41, s26
	v_lshrrev_b32_e32 v5, s36, v1
	v_and_b32_e32 v5, s41, v5
	v_and_b32_e32 v6, 1, v5
	v_mov_b32_e32 v15, v22
	v_add_co_u32_e32 v8, vcc, -1, v6
	v_mov_b32_e32 v16, v23
	v_addc_co_u32_e64 v22, s[26:27], 0, -1, vcc
	v_cmp_ne_u32_e32 vcc, 0, v6
	v_xor_b32_e32 v6, vcc_hi, v22
	v_lshlrev_b32_e32 v22, 30, v5
	v_xor_b32_e32 v8, vcc_lo, v8
	v_cmp_gt_i64_e32 vcc, 0, v[21:22]
	v_not_b32_e32 v22, v22
	v_ashrrev_i32_e32 v22, 31, v22
	v_and_b32_e32 v8, exec_lo, v8
	v_xor_b32_e32 v23, vcc_hi, v22
	v_xor_b32_e32 v22, vcc_lo, v22
	v_and_b32_e32 v8, v8, v22
	v_lshlrev_b32_e32 v22, 29, v5
	v_cmp_gt_i64_e32 vcc, 0, v[21:22]
	v_not_b32_e32 v22, v22
	v_and_b32_e32 v6, exec_hi, v6
	v_ashrrev_i32_e32 v22, 31, v22
	v_and_b32_e32 v6, v6, v23
	v_xor_b32_e32 v23, vcc_hi, v22
	v_xor_b32_e32 v22, vcc_lo, v22
	v_and_b32_e32 v8, v8, v22
	v_lshlrev_b32_e32 v22, 28, v5
	v_cmp_gt_i64_e32 vcc, 0, v[21:22]
	v_not_b32_e32 v22, v22
	v_ashrrev_i32_e32 v22, 31, v22
	v_and_b32_e32 v6, v6, v23
	v_xor_b32_e32 v23, vcc_hi, v22
	v_xor_b32_e32 v22, vcc_lo, v22
	v_and_b32_e32 v8, v8, v22
	v_lshlrev_b32_e32 v22, 27, v5
	v_cmp_gt_i64_e32 vcc, 0, v[21:22]
	v_not_b32_e32 v22, v22
	;; [unrolled: 8-line block ×4, first 2 shown]
	v_ashrrev_i32_e32 v22, 31, v22
	v_and_b32_e32 v6, v6, v23
	v_xor_b32_e32 v23, vcc_hi, v22
	v_xor_b32_e32 v22, vcc_lo, v22
	v_and_b32_e32 v8, v8, v22
	v_lshlrev_b32_e32 v22, 24, v5
	v_lshlrev_b32_e32 v7, 4, v5
	v_cmp_gt_i64_e32 vcc, 0, v[21:22]
	v_not_b32_e32 v5, v22
	v_ashrrev_i32_e32 v5, 31, v5
	v_xor_b32_e32 v22, vcc_hi, v5
	v_xor_b32_e32 v5, vcc_lo, v5
	v_and_b32_e32 v6, v6, v23
	v_and_b32_e32 v5, v8, v5
	;; [unrolled: 1-line block ×3, first 2 shown]
	v_mbcnt_lo_u32_b32 v8, v5, 0
	v_mbcnt_hi_u32_b32 v23, v6, v8
	v_cmp_ne_u64_e32 vcc, 0, v[5:6]
	v_mov_b32_e32 v13, v24
	v_mov_b32_e32 v11, v26
	;; [unrolled: 1-line block ×3, first 2 shown]
	v_cmp_eq_u32_e64 s[26:27], 0, v23
	v_mov_b32_e32 v14, v25
	v_mov_b32_e32 v12, v27
	;; [unrolled: 1-line block ×3, first 2 shown]
	s_and_b64 s[44:45], vcc, s[26:27]
	v_add_u32_e32 v24, v32, v7
	ds_write2_b64 v31, v[17:18], v[19:20] offset0:2 offset1:3
	s_waitcnt lgkmcnt(0)
	s_barrier
	; wave barrier
	s_and_saveexec_b64 s[26:27], s[44:45]
; %bb.20:                               ;   in Loop: Header=BB16_19 Depth=1
	v_bcnt_u32_b32 v5, v5, 0
	v_bcnt_u32_b32 v5, v6, v5
	ds_write_b32 v24, v5 offset:16
; %bb.21:                               ;   in Loop: Header=BB16_19 Depth=1
	s_or_b64 exec, exec, s[26:27]
	v_lshrrev_b32_e32 v5, s36, v2
	v_and_b32_e32 v5, s41, v5
	v_lshlrev_b32_e32 v6, 4, v5
	v_add_u32_e32 v26, v32, v6
	v_and_b32_e32 v6, 1, v5
	v_add_co_u32_e32 v7, vcc, -1, v6
	v_addc_co_u32_e64 v8, s[26:27], 0, -1, vcc
	v_cmp_ne_u32_e32 vcc, 0, v6
	v_lshlrev_b32_e32 v22, 30, v5
	v_xor_b32_e32 v6, vcc_hi, v8
	v_xor_b32_e32 v7, vcc_lo, v7
	v_cmp_gt_i64_e32 vcc, 0, v[21:22]
	v_not_b32_e32 v8, v22
	v_ashrrev_i32_e32 v8, 31, v8
	v_and_b32_e32 v6, exec_hi, v6
	v_xor_b32_e32 v22, vcc_hi, v8
	v_and_b32_e32 v7, exec_lo, v7
	v_xor_b32_e32 v8, vcc_lo, v8
	v_and_b32_e32 v6, v6, v22
	v_lshlrev_b32_e32 v22, 29, v5
	v_and_b32_e32 v7, v7, v8
	v_cmp_gt_i64_e32 vcc, 0, v[21:22]
	v_not_b32_e32 v8, v22
	v_ashrrev_i32_e32 v8, 31, v8
	v_xor_b32_e32 v22, vcc_hi, v8
	v_xor_b32_e32 v8, vcc_lo, v8
	v_and_b32_e32 v6, v6, v22
	v_lshlrev_b32_e32 v22, 28, v5
	v_and_b32_e32 v7, v7, v8
	v_cmp_gt_i64_e32 vcc, 0, v[21:22]
	v_not_b32_e32 v8, v22
	v_ashrrev_i32_e32 v8, 31, v8
	v_xor_b32_e32 v22, vcc_hi, v8
	;; [unrolled: 8-line block ×5, first 2 shown]
	v_and_b32_e32 v6, v6, v22
	v_lshlrev_b32_e32 v22, 24, v5
	v_xor_b32_e32 v8, vcc_lo, v8
	v_cmp_gt_i64_e32 vcc, 0, v[21:22]
	v_not_b32_e32 v5, v22
	v_ashrrev_i32_e32 v5, 31, v5
	v_and_b32_e32 v7, v7, v8
	v_xor_b32_e32 v8, vcc_hi, v5
	v_xor_b32_e32 v5, vcc_lo, v5
	; wave barrier
	ds_read_b32 v25, v26 offset:16
	v_and_b32_e32 v5, v7, v5
	v_and_b32_e32 v6, v6, v8
	v_mbcnt_lo_u32_b32 v7, v5, 0
	v_mbcnt_hi_u32_b32 v27, v6, v7
	v_cmp_ne_u64_e32 vcc, 0, v[5:6]
	v_cmp_eq_u32_e64 s[26:27], 0, v27
	s_and_b64 s[44:45], vcc, s[26:27]
	; wave barrier
	s_and_saveexec_b64 s[26:27], s[44:45]
	s_cbranch_execz .LBB16_23
; %bb.22:                               ;   in Loop: Header=BB16_19 Depth=1
	v_bcnt_u32_b32 v5, v5, 0
	v_bcnt_u32_b32 v5, v6, v5
	s_waitcnt lgkmcnt(0)
	v_add_u32_e32 v5, v25, v5
	ds_write_b32 v26, v5 offset:16
.LBB16_23:                              ;   in Loop: Header=BB16_19 Depth=1
	s_or_b64 exec, exec, s[26:27]
	v_lshrrev_b32_e32 v5, s36, v3
	v_and_b32_e32 v5, s41, v5
	v_lshlrev_b32_e32 v6, 4, v5
	v_add_u32_e32 v29, v32, v6
	v_and_b32_e32 v6, 1, v5
	v_add_co_u32_e32 v7, vcc, -1, v6
	v_addc_co_u32_e64 v8, s[26:27], 0, -1, vcc
	v_cmp_ne_u32_e32 vcc, 0, v6
	v_lshlrev_b32_e32 v22, 30, v5
	v_xor_b32_e32 v6, vcc_hi, v8
	v_xor_b32_e32 v7, vcc_lo, v7
	v_cmp_gt_i64_e32 vcc, 0, v[21:22]
	v_not_b32_e32 v8, v22
	v_ashrrev_i32_e32 v8, 31, v8
	v_and_b32_e32 v6, exec_hi, v6
	v_xor_b32_e32 v22, vcc_hi, v8
	v_and_b32_e32 v7, exec_lo, v7
	v_xor_b32_e32 v8, vcc_lo, v8
	v_and_b32_e32 v6, v6, v22
	v_lshlrev_b32_e32 v22, 29, v5
	v_and_b32_e32 v7, v7, v8
	v_cmp_gt_i64_e32 vcc, 0, v[21:22]
	v_not_b32_e32 v8, v22
	v_ashrrev_i32_e32 v8, 31, v8
	v_xor_b32_e32 v22, vcc_hi, v8
	v_xor_b32_e32 v8, vcc_lo, v8
	v_and_b32_e32 v6, v6, v22
	v_lshlrev_b32_e32 v22, 28, v5
	v_and_b32_e32 v7, v7, v8
	v_cmp_gt_i64_e32 vcc, 0, v[21:22]
	v_not_b32_e32 v8, v22
	v_ashrrev_i32_e32 v8, 31, v8
	v_xor_b32_e32 v22, vcc_hi, v8
	;; [unrolled: 8-line block ×5, first 2 shown]
	v_and_b32_e32 v6, v6, v22
	v_lshlrev_b32_e32 v22, 24, v5
	v_xor_b32_e32 v8, vcc_lo, v8
	v_cmp_gt_i64_e32 vcc, 0, v[21:22]
	v_not_b32_e32 v5, v22
	v_ashrrev_i32_e32 v5, 31, v5
	v_and_b32_e32 v7, v7, v8
	v_xor_b32_e32 v8, vcc_hi, v5
	v_xor_b32_e32 v5, vcc_lo, v5
	; wave barrier
	ds_read_b32 v28, v29 offset:16
	v_and_b32_e32 v5, v7, v5
	v_and_b32_e32 v6, v6, v8
	v_mbcnt_lo_u32_b32 v7, v5, 0
	v_mbcnt_hi_u32_b32 v45, v6, v7
	v_cmp_ne_u64_e32 vcc, 0, v[5:6]
	v_cmp_eq_u32_e64 s[26:27], 0, v45
	s_and_b64 s[44:45], vcc, s[26:27]
	; wave barrier
	s_and_saveexec_b64 s[26:27], s[44:45]
	s_cbranch_execz .LBB16_25
; %bb.24:                               ;   in Loop: Header=BB16_19 Depth=1
	v_bcnt_u32_b32 v5, v5, 0
	v_bcnt_u32_b32 v5, v6, v5
	s_waitcnt lgkmcnt(0)
	v_add_u32_e32 v5, v28, v5
	ds_write_b32 v29, v5 offset:16
.LBB16_25:                              ;   in Loop: Header=BB16_19 Depth=1
	s_or_b64 exec, exec, s[26:27]
	v_lshrrev_b32_e32 v5, s36, v4
	v_and_b32_e32 v5, s41, v5
	v_lshlrev_b32_e32 v6, 4, v5
	v_add_u32_e32 v47, v32, v6
	v_and_b32_e32 v6, 1, v5
	v_add_co_u32_e32 v7, vcc, -1, v6
	v_addc_co_u32_e64 v8, s[26:27], 0, -1, vcc
	v_cmp_ne_u32_e32 vcc, 0, v6
	v_lshlrev_b32_e32 v22, 30, v5
	v_xor_b32_e32 v6, vcc_hi, v8
	v_xor_b32_e32 v7, vcc_lo, v7
	v_cmp_gt_i64_e32 vcc, 0, v[21:22]
	v_not_b32_e32 v8, v22
	v_ashrrev_i32_e32 v8, 31, v8
	v_and_b32_e32 v6, exec_hi, v6
	v_xor_b32_e32 v22, vcc_hi, v8
	v_and_b32_e32 v7, exec_lo, v7
	v_xor_b32_e32 v8, vcc_lo, v8
	v_and_b32_e32 v6, v6, v22
	v_lshlrev_b32_e32 v22, 29, v5
	v_and_b32_e32 v7, v7, v8
	v_cmp_gt_i64_e32 vcc, 0, v[21:22]
	v_not_b32_e32 v8, v22
	v_ashrrev_i32_e32 v8, 31, v8
	v_xor_b32_e32 v22, vcc_hi, v8
	v_xor_b32_e32 v8, vcc_lo, v8
	v_and_b32_e32 v6, v6, v22
	v_lshlrev_b32_e32 v22, 28, v5
	v_and_b32_e32 v7, v7, v8
	v_cmp_gt_i64_e32 vcc, 0, v[21:22]
	v_not_b32_e32 v8, v22
	v_ashrrev_i32_e32 v8, 31, v8
	v_xor_b32_e32 v22, vcc_hi, v8
	;; [unrolled: 8-line block ×5, first 2 shown]
	v_and_b32_e32 v6, v6, v22
	v_lshlrev_b32_e32 v22, 24, v5
	v_xor_b32_e32 v8, vcc_lo, v8
	v_cmp_gt_i64_e32 vcc, 0, v[21:22]
	v_not_b32_e32 v5, v22
	v_ashrrev_i32_e32 v5, 31, v5
	v_and_b32_e32 v7, v7, v8
	v_xor_b32_e32 v8, vcc_hi, v5
	v_xor_b32_e32 v5, vcc_lo, v5
	; wave barrier
	ds_read_b32 v46, v47 offset:16
	v_and_b32_e32 v5, v7, v5
	v_and_b32_e32 v6, v6, v8
	v_mbcnt_lo_u32_b32 v7, v5, 0
	v_mbcnt_hi_u32_b32 v22, v6, v7
	v_cmp_ne_u64_e32 vcc, 0, v[5:6]
	v_cmp_eq_u32_e64 s[26:27], 0, v22
	s_and_b64 s[44:45], vcc, s[26:27]
	; wave barrier
	s_and_saveexec_b64 s[26:27], s[44:45]
	s_cbranch_execz .LBB16_27
; %bb.26:                               ;   in Loop: Header=BB16_19 Depth=1
	v_bcnt_u32_b32 v5, v5, 0
	v_bcnt_u32_b32 v5, v6, v5
	s_waitcnt lgkmcnt(0)
	v_add_u32_e32 v5, v46, v5
	ds_write_b32 v47, v5 offset:16
.LBB16_27:                              ;   in Loop: Header=BB16_19 Depth=1
	s_or_b64 exec, exec, s[26:27]
	; wave barrier
	s_waitcnt lgkmcnt(0)
	s_barrier
	ds_read2_b64 v[5:8], v31 offset0:2 offset1:3
	s_waitcnt lgkmcnt(0)
	v_add_u32_e32 v48, v6, v5
	v_add3_u32 v8, v48, v7, v8
	s_nop 1
	v_mov_b32_dpp v48, v8 row_shr:1 row_mask:0xf bank_mask:0xf
	v_cndmask_b32_e64 v48, v48, 0, s[0:1]
	v_add_u32_e32 v8, v48, v8
	s_nop 1
	v_mov_b32_dpp v48, v8 row_shr:2 row_mask:0xf bank_mask:0xf
	v_cndmask_b32_e64 v48, 0, v48, s[2:3]
	v_add_u32_e32 v8, v8, v48
	;; [unrolled: 4-line block ×4, first 2 shown]
	s_nop 1
	v_mov_b32_dpp v48, v8 row_bcast:15 row_mask:0xf bank_mask:0xf
	v_cndmask_b32_e64 v48, v48, 0, s[8:9]
	v_add_u32_e32 v8, v8, v48
	s_nop 1
	v_mov_b32_dpp v48, v8 row_bcast:31 row_mask:0xf bank_mask:0xf
	v_cndmask_b32_e64 v48, 0, v48, s[10:11]
	v_add_u32_e32 v8, v8, v48
	s_and_saveexec_b64 s[26:27], s[12:13]
; %bb.28:                               ;   in Loop: Header=BB16_19 Depth=1
	ds_write_b32 v35, v8
; %bb.29:                               ;   in Loop: Header=BB16_19 Depth=1
	s_or_b64 exec, exec, s[26:27]
	s_waitcnt lgkmcnt(0)
	s_barrier
	s_and_saveexec_b64 s[26:27], s[14:15]
	s_cbranch_execz .LBB16_31
; %bb.30:                               ;   in Loop: Header=BB16_19 Depth=1
	v_add_u32_e32 v48, v31, v33
	ds_read_b32 v49, v48
	s_waitcnt lgkmcnt(0)
	s_nop 0
	v_mov_b32_dpp v50, v49 row_shr:1 row_mask:0xf bank_mask:0xf
	v_cndmask_b32_e64 v50, v50, 0, s[22:23]
	v_add_u32_e32 v49, v50, v49
	s_nop 1
	v_mov_b32_dpp v50, v49 row_shr:2 row_mask:0xf bank_mask:0xf
	v_cndmask_b32_e64 v50, 0, v50, s[24:25]
	v_add_u32_e32 v49, v49, v50
	ds_write_b32 v48, v49
.LBB16_31:                              ;   in Loop: Header=BB16_19 Depth=1
	s_or_b64 exec, exec, s[26:27]
	v_mov_b32_e32 v48, 0
	s_waitcnt lgkmcnt(0)
	s_barrier
	s_and_saveexec_b64 s[26:27], s[16:17]
; %bb.32:                               ;   in Loop: Header=BB16_19 Depth=1
	ds_read_b32 v48, v36
; %bb.33:                               ;   in Loop: Header=BB16_19 Depth=1
	s_or_b64 exec, exec, s[26:27]
	s_waitcnt lgkmcnt(0)
	v_add_u32_e32 v8, v48, v8
	ds_bpermute_b32 v8, v34, v8
	s_add_i32 s36, s36, 8
	s_cmp_ge_u32 s36, s40
	s_mov_b64 s[26:27], -1
	s_waitcnt lgkmcnt(0)
	v_cndmask_b32_e64 v8, v8, v48, s[18:19]
	v_cndmask_b32_e64 v48, v8, 0, s[20:21]
	v_add_u32_e32 v49, v48, v5
	v_add_u32_e32 v5, v49, v6
	;; [unrolled: 1-line block ×3, first 2 shown]
	ds_write2_b64 v31, v[48:49], v[5:6] offset0:2 offset1:3
	s_waitcnt lgkmcnt(0)
	s_barrier
	ds_read_b32 v5, v24 offset:16
	ds_read_b32 v6, v26 offset:16
	;; [unrolled: 1-line block ×4, first 2 shown]
	s_waitcnt lgkmcnt(0)
	v_add_u32_e32 v49, v5, v23
	v_add3_u32 v48, v27, v25, v6
	v_add3_u32 v47, v45, v28, v7
	;; [unrolled: 1-line block ×3, first 2 shown]
	v_lshlrev_b32_e32 v52, 2, v49
	v_lshlrev_b32_e32 v51, 2, v48
	;; [unrolled: 1-line block ×4, first 2 shown]
                                        ; implicit-def: $vgpr5_vgpr6_vgpr7_vgpr8
                                        ; implicit-def: $vgpr22_vgpr23
                                        ; implicit-def: $vgpr24_vgpr25
                                        ; implicit-def: $vgpr26_vgpr27
                                        ; implicit-def: $vgpr28_vgpr29
	s_cbranch_scc1 .LBB16_18
; %bb.34:                               ;   in Loop: Header=BB16_19 Depth=1
	v_lshl_add_u32 v22, v49, 2, v52
	s_barrier
	ds_write_b32 v52, v1
	ds_write_b32 v51, v2
	;; [unrolled: 1-line block ×4, first 2 shown]
	s_waitcnt lgkmcnt(0)
	s_barrier
	ds_read_b32 v5, v37
	ds_read_b32 v6, v38
	;; [unrolled: 1-line block ×4, first 2 shown]
	s_waitcnt lgkmcnt(0)
	s_barrier
	ds_write_b64 v22, v[15:16]
	v_lshl_add_u32 v22, v48, 2, v51
	ds_write_b64 v22, v[13:14]
	v_lshl_add_u32 v22, v47, 2, v50
	;; [unrolled: 2-line block ×3, first 2 shown]
	ds_write_b64 v22, v[9:10]
	s_waitcnt lgkmcnt(0)
	s_barrier
	ds_read_b64 v[22:23], v41
	ds_read_b64 v[24:25], v42
	;; [unrolled: 1-line block ×4, first 2 shown]
	s_add_i32 s37, s37, -8
	s_mov_b64 s[26:27], 0
	s_waitcnt lgkmcnt(0)
	s_barrier
	s_branch .LBB16_18
.LBB16_35:
	s_barrier
	ds_write_b32 v52, v1
	ds_write_b32 v51, v2
	;; [unrolled: 1-line block ×4, first 2 shown]
	v_add_u32_e32 v1, v31, v33
	s_waitcnt lgkmcnt(0)
	s_barrier
	ds_read2st64_b32 v[19:20], v1 offset1:4
	ds_read2st64_b32 v[17:18], v1 offset0:8 offset1:12
	v_lshl_add_u32 v1, v49, 2, v52
	s_waitcnt lgkmcnt(0)
	s_barrier
	ds_write_b64 v1, v[15:16]
	v_lshl_add_u32 v1, v48, 2, v51
	ds_write_b64 v1, v[13:14]
	v_lshl_add_u32 v1, v47, 2, v50
	;; [unrolled: 2-line block ×3, first 2 shown]
	v_lshlrev_b32_e32 v11, 3, v0
	ds_write_b64 v1, v[9:10]
	s_waitcnt lgkmcnt(0)
	s_barrier
	ds_read2st64_b64 v[5:8], v11 offset1:4
	ds_read2st64_b64 v[1:4], v11 offset0:8 offset1:12
	s_add_u32 s0, s38, s34
	s_addc_u32 s1, s39, s35
	v_mov_b32_e32 v10, s1
	v_add_co_u32_e64 v9, s[0:1], s0, v30
	s_andn2_b64 vcc, exec, s[30:31]
	v_addc_co_u32_e64 v10, s[0:1], 0, v10, s[0:1]
	s_cbranch_vccnz .LBB16_37
; %bb.36:
	s_lshl_b64 s[0:1], s[28:29], 3
	s_add_u32 s0, s42, s0
	s_addc_u32 s1, s43, s1
	v_mov_b32_e32 v12, s1
	v_add_co_u32_e32 v13, vcc, s0, v11
	v_addc_co_u32_e32 v14, vcc, 0, v12, vcc
	v_add_co_u32_e32 v12, vcc, 0x1000, v13
	global_store_dword v[9:10], v19, off
	global_store_dword v[9:10], v20, off offset:1024
	global_store_dword v[9:10], v17, off offset:2048
	;; [unrolled: 1-line block ×3, first 2 shown]
	s_waitcnt lgkmcnt(1)
	global_store_dwordx2 v11, v[5:6], s[0:1]
	global_store_dwordx2 v11, v[7:8], s[0:1] offset:2048
	v_addc_co_u32_e32 v13, vcc, 0, v14, vcc
	s_mov_b64 s[6:7], -1
	s_waitcnt lgkmcnt(0)
	global_store_dwordx2 v[12:13], v[1:2], off
	s_cbranch_execz .LBB16_38
	s_branch .LBB16_51
.LBB16_37:
	s_mov_b64 s[6:7], 0
.LBB16_38:
	v_cmp_gt_u32_e32 vcc, s33, v0
	s_and_saveexec_b64 s[0:1], vcc
	s_cbranch_execz .LBB16_40
; %bb.39:
	global_store_dword v[9:10], v19, off
.LBB16_40:
	s_or_b64 exec, exec, s[0:1]
	v_or_b32_e32 v12, 0x100, v0
	v_cmp_gt_u32_e64 s[0:1], s33, v12
	s_and_saveexec_b64 s[2:3], s[0:1]
	s_cbranch_execz .LBB16_42
; %bb.41:
	global_store_dword v[9:10], v20, off offset:1024
.LBB16_42:
	s_or_b64 exec, exec, s[2:3]
	v_or_b32_e32 v12, 0x200, v0
	v_cmp_gt_u32_e64 s[2:3], s33, v12
	s_and_saveexec_b64 s[4:5], s[2:3]
	s_cbranch_execz .LBB16_44
; %bb.43:
	global_store_dword v[9:10], v17, off offset:2048
.LBB16_44:
	;; [unrolled: 8-line block ×3, first 2 shown]
	s_or_b64 exec, exec, s[4:5]
	s_lshl_b64 s[4:5], s[28:29], 3
	s_add_u32 s4, s42, s4
	s_addc_u32 s5, s43, s5
	v_mov_b32_e32 v0, s5
	v_add_co_u32_e64 v9, s[4:5], s4, v11
	v_addc_co_u32_e64 v10, s[4:5], 0, v0, s[4:5]
	s_and_saveexec_b64 s[4:5], vcc
	s_cbranch_execnz .LBB16_57
; %bb.47:
	s_or_b64 exec, exec, s[4:5]
	s_and_saveexec_b64 s[4:5], s[0:1]
	s_cbranch_execnz .LBB16_58
.LBB16_48:
	s_or_b64 exec, exec, s[4:5]
	s_and_saveexec_b64 s[0:1], s[2:3]
	s_cbranch_execz .LBB16_50
.LBB16_49:
	s_waitcnt lgkmcnt(1)
	v_add_co_u32_e32 v5, vcc, 0x1000, v9
	v_addc_co_u32_e32 v6, vcc, 0, v10, vcc
	s_waitcnt lgkmcnt(0)
	global_store_dwordx2 v[5:6], v[1:2], off
.LBB16_50:
	s_or_b64 exec, exec, s[0:1]
.LBB16_51:
	s_and_saveexec_b64 s[0:1], s[6:7]
	s_cbranch_execnz .LBB16_53
; %bb.52:
	s_endpgm
.LBB16_53:
	s_lshl_b64 s[0:1], s[28:29], 3
	s_add_u32 s0, s42, s0
	s_addc_u32 s1, s43, s1
	v_mov_b32_e32 v0, s1
	s_waitcnt lgkmcnt(0)
	v_add_co_u32_e32 v1, vcc, s0, v11
	v_addc_co_u32_e32 v2, vcc, 0, v0, vcc
	v_add_co_u32_e32 v0, vcc, 0x1000, v1
	v_addc_co_u32_e32 v1, vcc, 0, v2, vcc
	global_store_dwordx2 v[0:1], v[3:4], off offset:2048
	s_endpgm
.LBB16_54:
	global_load_dwordx2 v[22:23], v[3:4], off
	s_or_b64 exec, exec, s[8:9]
                                        ; implicit-def: $vgpr24_vgpr25
	s_and_saveexec_b64 s[8:9], s[0:1]
	s_cbranch_execz .LBB16_13
.LBB16_55:
	global_load_dwordx2 v[24:25], v[3:4], off offset:512
	s_or_b64 exec, exec, s[8:9]
                                        ; implicit-def: $vgpr26_vgpr27
	s_and_saveexec_b64 s[0:1], s[2:3]
	s_cbranch_execz .LBB16_14
.LBB16_56:
	global_load_dwordx2 v[26:27], v[3:4], off offset:1024
	s_or_b64 exec, exec, s[0:1]
                                        ; implicit-def: $vgpr28_vgpr29
	s_and_saveexec_b64 s[0:1], s[6:7]
	s_cbranch_execnz .LBB16_15
	s_branch .LBB16_16
.LBB16_57:
	s_waitcnt lgkmcnt(1)
	global_store_dwordx2 v[9:10], v[5:6], off
	s_or_b64 exec, exec, s[4:5]
	s_and_saveexec_b64 s[4:5], s[0:1]
	s_cbranch_execz .LBB16_48
.LBB16_58:
	s_waitcnt lgkmcnt(1)
	global_store_dwordx2 v[9:10], v[7:8], off offset:2048
	s_or_b64 exec, exec, s[4:5]
	s_and_saveexec_b64 s[0:1], s[2:3]
	s_cbranch_execnz .LBB16_49
	s_branch .LBB16_50
	.section	.rodata,"a",@progbits
	.p2align	6, 0x0
	.amdhsa_kernel _ZN7rocprim17ROCPRIM_304000_NS6detail28radix_sort_block_sort_kernelINS1_36wrapped_radix_sort_block_sort_configINS0_13kernel_configILj256ELj4ELj4294967295EEEjN2at4cuda3cub6detail10OpaqueTypeILi8EEEEELb0EPKjPjPKSB_PSB_NS0_19identity_decomposerEEEvT1_T2_T3_T4_jT5_jj
		.amdhsa_group_segment_fixed_size 8192
		.amdhsa_private_segment_fixed_size 0
		.amdhsa_kernarg_size 304
		.amdhsa_user_sgpr_count 6
		.amdhsa_user_sgpr_private_segment_buffer 1
		.amdhsa_user_sgpr_dispatch_ptr 0
		.amdhsa_user_sgpr_queue_ptr 0
		.amdhsa_user_sgpr_kernarg_segment_ptr 1
		.amdhsa_user_sgpr_dispatch_id 0
		.amdhsa_user_sgpr_flat_scratch_init 0
		.amdhsa_user_sgpr_private_segment_size 0
		.amdhsa_uses_dynamic_stack 0
		.amdhsa_system_sgpr_private_segment_wavefront_offset 0
		.amdhsa_system_sgpr_workgroup_id_x 1
		.amdhsa_system_sgpr_workgroup_id_y 0
		.amdhsa_system_sgpr_workgroup_id_z 0
		.amdhsa_system_sgpr_workgroup_info 0
		.amdhsa_system_vgpr_workitem_id 2
		.amdhsa_next_free_vgpr 53
		.amdhsa_next_free_sgpr 61
		.amdhsa_reserve_vcc 1
		.amdhsa_reserve_flat_scratch 0
		.amdhsa_float_round_mode_32 0
		.amdhsa_float_round_mode_16_64 0
		.amdhsa_float_denorm_mode_32 3
		.amdhsa_float_denorm_mode_16_64 3
		.amdhsa_dx10_clamp 1
		.amdhsa_ieee_mode 1
		.amdhsa_fp16_overflow 0
		.amdhsa_exception_fp_ieee_invalid_op 0
		.amdhsa_exception_fp_denorm_src 0
		.amdhsa_exception_fp_ieee_div_zero 0
		.amdhsa_exception_fp_ieee_overflow 0
		.amdhsa_exception_fp_ieee_underflow 0
		.amdhsa_exception_fp_ieee_inexact 0
		.amdhsa_exception_int_div_zero 0
	.end_amdhsa_kernel
	.section	.text._ZN7rocprim17ROCPRIM_304000_NS6detail28radix_sort_block_sort_kernelINS1_36wrapped_radix_sort_block_sort_configINS0_13kernel_configILj256ELj4ELj4294967295EEEjN2at4cuda3cub6detail10OpaqueTypeILi8EEEEELb0EPKjPjPKSB_PSB_NS0_19identity_decomposerEEEvT1_T2_T3_T4_jT5_jj,"axG",@progbits,_ZN7rocprim17ROCPRIM_304000_NS6detail28radix_sort_block_sort_kernelINS1_36wrapped_radix_sort_block_sort_configINS0_13kernel_configILj256ELj4ELj4294967295EEEjN2at4cuda3cub6detail10OpaqueTypeILi8EEEEELb0EPKjPjPKSB_PSB_NS0_19identity_decomposerEEEvT1_T2_T3_T4_jT5_jj,comdat
.Lfunc_end16:
	.size	_ZN7rocprim17ROCPRIM_304000_NS6detail28radix_sort_block_sort_kernelINS1_36wrapped_radix_sort_block_sort_configINS0_13kernel_configILj256ELj4ELj4294967295EEEjN2at4cuda3cub6detail10OpaqueTypeILi8EEEEELb0EPKjPjPKSB_PSB_NS0_19identity_decomposerEEEvT1_T2_T3_T4_jT5_jj, .Lfunc_end16-_ZN7rocprim17ROCPRIM_304000_NS6detail28radix_sort_block_sort_kernelINS1_36wrapped_radix_sort_block_sort_configINS0_13kernel_configILj256ELj4ELj4294967295EEEjN2at4cuda3cub6detail10OpaqueTypeILi8EEEEELb0EPKjPjPKSB_PSB_NS0_19identity_decomposerEEEvT1_T2_T3_T4_jT5_jj
                                        ; -- End function
	.set _ZN7rocprim17ROCPRIM_304000_NS6detail28radix_sort_block_sort_kernelINS1_36wrapped_radix_sort_block_sort_configINS0_13kernel_configILj256ELj4ELj4294967295EEEjN2at4cuda3cub6detail10OpaqueTypeILi8EEEEELb0EPKjPjPKSB_PSB_NS0_19identity_decomposerEEEvT1_T2_T3_T4_jT5_jj.num_vgpr, 53
	.set _ZN7rocprim17ROCPRIM_304000_NS6detail28radix_sort_block_sort_kernelINS1_36wrapped_radix_sort_block_sort_configINS0_13kernel_configILj256ELj4ELj4294967295EEEjN2at4cuda3cub6detail10OpaqueTypeILi8EEEEELb0EPKjPjPKSB_PSB_NS0_19identity_decomposerEEEvT1_T2_T3_T4_jT5_jj.num_agpr, 0
	.set _ZN7rocprim17ROCPRIM_304000_NS6detail28radix_sort_block_sort_kernelINS1_36wrapped_radix_sort_block_sort_configINS0_13kernel_configILj256ELj4ELj4294967295EEEjN2at4cuda3cub6detail10OpaqueTypeILi8EEEEELb0EPKjPjPKSB_PSB_NS0_19identity_decomposerEEEvT1_T2_T3_T4_jT5_jj.numbered_sgpr, 46
	.set _ZN7rocprim17ROCPRIM_304000_NS6detail28radix_sort_block_sort_kernelINS1_36wrapped_radix_sort_block_sort_configINS0_13kernel_configILj256ELj4ELj4294967295EEEjN2at4cuda3cub6detail10OpaqueTypeILi8EEEEELb0EPKjPjPKSB_PSB_NS0_19identity_decomposerEEEvT1_T2_T3_T4_jT5_jj.num_named_barrier, 0
	.set _ZN7rocprim17ROCPRIM_304000_NS6detail28radix_sort_block_sort_kernelINS1_36wrapped_radix_sort_block_sort_configINS0_13kernel_configILj256ELj4ELj4294967295EEEjN2at4cuda3cub6detail10OpaqueTypeILi8EEEEELb0EPKjPjPKSB_PSB_NS0_19identity_decomposerEEEvT1_T2_T3_T4_jT5_jj.private_seg_size, 0
	.set _ZN7rocprim17ROCPRIM_304000_NS6detail28radix_sort_block_sort_kernelINS1_36wrapped_radix_sort_block_sort_configINS0_13kernel_configILj256ELj4ELj4294967295EEEjN2at4cuda3cub6detail10OpaqueTypeILi8EEEEELb0EPKjPjPKSB_PSB_NS0_19identity_decomposerEEEvT1_T2_T3_T4_jT5_jj.uses_vcc, 1
	.set _ZN7rocprim17ROCPRIM_304000_NS6detail28radix_sort_block_sort_kernelINS1_36wrapped_radix_sort_block_sort_configINS0_13kernel_configILj256ELj4ELj4294967295EEEjN2at4cuda3cub6detail10OpaqueTypeILi8EEEEELb0EPKjPjPKSB_PSB_NS0_19identity_decomposerEEEvT1_T2_T3_T4_jT5_jj.uses_flat_scratch, 0
	.set _ZN7rocprim17ROCPRIM_304000_NS6detail28radix_sort_block_sort_kernelINS1_36wrapped_radix_sort_block_sort_configINS0_13kernel_configILj256ELj4ELj4294967295EEEjN2at4cuda3cub6detail10OpaqueTypeILi8EEEEELb0EPKjPjPKSB_PSB_NS0_19identity_decomposerEEEvT1_T2_T3_T4_jT5_jj.has_dyn_sized_stack, 0
	.set _ZN7rocprim17ROCPRIM_304000_NS6detail28radix_sort_block_sort_kernelINS1_36wrapped_radix_sort_block_sort_configINS0_13kernel_configILj256ELj4ELj4294967295EEEjN2at4cuda3cub6detail10OpaqueTypeILi8EEEEELb0EPKjPjPKSB_PSB_NS0_19identity_decomposerEEEvT1_T2_T3_T4_jT5_jj.has_recursion, 0
	.set _ZN7rocprim17ROCPRIM_304000_NS6detail28radix_sort_block_sort_kernelINS1_36wrapped_radix_sort_block_sort_configINS0_13kernel_configILj256ELj4ELj4294967295EEEjN2at4cuda3cub6detail10OpaqueTypeILi8EEEEELb0EPKjPjPKSB_PSB_NS0_19identity_decomposerEEEvT1_T2_T3_T4_jT5_jj.has_indirect_call, 0
	.section	.AMDGPU.csdata,"",@progbits
; Kernel info:
; codeLenInByte = 3768
; TotalNumSgprs: 50
; NumVgprs: 53
; ScratchSize: 0
; MemoryBound: 0
; FloatMode: 240
; IeeeMode: 1
; LDSByteSize: 8192 bytes/workgroup (compile time only)
; SGPRBlocks: 8
; VGPRBlocks: 13
; NumSGPRsForWavesPerEU: 65
; NumVGPRsForWavesPerEU: 53
; Occupancy: 4
; WaveLimiterHint : 1
; COMPUTE_PGM_RSRC2:SCRATCH_EN: 0
; COMPUTE_PGM_RSRC2:USER_SGPR: 6
; COMPUTE_PGM_RSRC2:TRAP_HANDLER: 0
; COMPUTE_PGM_RSRC2:TGID_X_EN: 1
; COMPUTE_PGM_RSRC2:TGID_Y_EN: 0
; COMPUTE_PGM_RSRC2:TGID_Z_EN: 0
; COMPUTE_PGM_RSRC2:TIDIG_COMP_CNT: 2
	.section	.text._ZN7rocprim17ROCPRIM_304000_NS6detail45device_block_merge_mergepath_partition_kernelINS1_37wrapped_merge_sort_block_merge_configINS0_14default_configEjN2at4cuda3cub6detail10OpaqueTypeILi8EEEEEPjjNS1_19radix_merge_compareILb0ELb0EjNS0_19identity_decomposerEEEEEvT0_T1_jPSH_T2_SH_,"axG",@progbits,_ZN7rocprim17ROCPRIM_304000_NS6detail45device_block_merge_mergepath_partition_kernelINS1_37wrapped_merge_sort_block_merge_configINS0_14default_configEjN2at4cuda3cub6detail10OpaqueTypeILi8EEEEEPjjNS1_19radix_merge_compareILb0ELb0EjNS0_19identity_decomposerEEEEEvT0_T1_jPSH_T2_SH_,comdat
	.protected	_ZN7rocprim17ROCPRIM_304000_NS6detail45device_block_merge_mergepath_partition_kernelINS1_37wrapped_merge_sort_block_merge_configINS0_14default_configEjN2at4cuda3cub6detail10OpaqueTypeILi8EEEEEPjjNS1_19radix_merge_compareILb0ELb0EjNS0_19identity_decomposerEEEEEvT0_T1_jPSH_T2_SH_ ; -- Begin function _ZN7rocprim17ROCPRIM_304000_NS6detail45device_block_merge_mergepath_partition_kernelINS1_37wrapped_merge_sort_block_merge_configINS0_14default_configEjN2at4cuda3cub6detail10OpaqueTypeILi8EEEEEPjjNS1_19radix_merge_compareILb0ELb0EjNS0_19identity_decomposerEEEEEvT0_T1_jPSH_T2_SH_
	.globl	_ZN7rocprim17ROCPRIM_304000_NS6detail45device_block_merge_mergepath_partition_kernelINS1_37wrapped_merge_sort_block_merge_configINS0_14default_configEjN2at4cuda3cub6detail10OpaqueTypeILi8EEEEEPjjNS1_19radix_merge_compareILb0ELb0EjNS0_19identity_decomposerEEEEEvT0_T1_jPSH_T2_SH_
	.p2align	8
	.type	_ZN7rocprim17ROCPRIM_304000_NS6detail45device_block_merge_mergepath_partition_kernelINS1_37wrapped_merge_sort_block_merge_configINS0_14default_configEjN2at4cuda3cub6detail10OpaqueTypeILi8EEEEEPjjNS1_19radix_merge_compareILb0ELb0EjNS0_19identity_decomposerEEEEEvT0_T1_jPSH_T2_SH_,@function
_ZN7rocprim17ROCPRIM_304000_NS6detail45device_block_merge_mergepath_partition_kernelINS1_37wrapped_merge_sort_block_merge_configINS0_14default_configEjN2at4cuda3cub6detail10OpaqueTypeILi8EEEEEPjjNS1_19radix_merge_compareILb0ELb0EjNS0_19identity_decomposerEEEEEvT0_T1_jPSH_T2_SH_: ; @_ZN7rocprim17ROCPRIM_304000_NS6detail45device_block_merge_mergepath_partition_kernelINS1_37wrapped_merge_sort_block_merge_configINS0_14default_configEjN2at4cuda3cub6detail10OpaqueTypeILi8EEEEEPjjNS1_19radix_merge_compareILb0ELb0EjNS0_19identity_decomposerEEEEEvT0_T1_jPSH_T2_SH_
; %bb.0:
	s_load_dwordx2 s[0:1], s[4:5], 0x8
	v_lshl_or_b32 v0, s6, 7, v0
	s_waitcnt lgkmcnt(0)
	v_cmp_gt_u32_e32 vcc, s1, v0
	s_and_saveexec_b64 s[2:3], vcc
	s_cbranch_execz .LBB17_6
; %bb.1:
	s_load_dword s1, s[4:5], 0x1c
	s_waitcnt lgkmcnt(0)
	s_lshr_b32 s2, s1, 8
	s_and_b32 s2, s2, 0xfffffe
	s_add_i32 s3, s2, -1
	s_sub_i32 s2, 0, s2
	v_and_b32_e32 v1, s2, v0
	v_lshlrev_b32_e32 v3, 9, v1
	v_min_u32_e32 v1, s0, v3
	v_add_u32_e32 v3, s1, v3
	v_min_u32_e32 v3, s0, v3
	v_add_u32_e32 v4, s1, v3
	v_and_b32_e32 v2, s3, v0
	v_min_u32_e32 v4, s0, v4
	v_lshlrev_b32_e32 v2, 9, v2
	v_sub_u32_e32 v5, v4, v1
	v_min_u32_e32 v6, v5, v2
	v_sub_u32_e32 v2, v3, v1
	v_sub_u32_e32 v4, v4, v3
	v_sub_u32_e64 v5, v6, v4 clamp
	v_min_u32_e32 v7, v6, v2
	v_cmp_lt_u32_e32 vcc, v5, v7
	s_and_saveexec_b64 s[0:1], vcc
	s_cbranch_execz .LBB17_5
; %bb.2:
	s_load_dwordx2 s[2:3], s[4:5], 0x0
	v_mov_b32_e32 v4, 0
	v_mov_b32_e32 v2, v4
	v_lshlrev_b64 v[8:9], 2, v[1:2]
	s_waitcnt lgkmcnt(0)
	v_mov_b32_e32 v11, s3
	v_add_co_u32_e32 v2, vcc, s2, v8
	v_addc_co_u32_e32 v8, vcc, v11, v9, vcc
	v_lshlrev_b64 v[9:10], 2, v[3:4]
	v_add_co_u32_e32 v9, vcc, s2, v9
	v_addc_co_u32_e32 v10, vcc, v11, v10, vcc
	s_mov_b64 s[2:3], 0
.LBB17_3:                               ; =>This Inner Loop Header: Depth=1
	v_add_u32_e32 v3, v7, v5
	v_lshrrev_b32_e32 v3, 1, v3
	v_lshlrev_b64 v[13:14], 2, v[3:4]
	v_mov_b32_e32 v12, v4
	v_xad_u32 v11, v3, -1, v6
	v_lshlrev_b64 v[11:12], 2, v[11:12]
	v_add_co_u32_e32 v13, vcc, v2, v13
	v_addc_co_u32_e32 v14, vcc, v8, v14, vcc
	v_add_co_u32_e32 v11, vcc, v9, v11
	v_addc_co_u32_e32 v12, vcc, v10, v12, vcc
	global_load_dword v15, v[13:14], off
	global_load_dword v16, v[11:12], off
	v_add_u32_e32 v11, 1, v3
	s_waitcnt vmcnt(0)
	v_cmp_gt_u32_e32 vcc, v15, v16
	v_cndmask_b32_e32 v7, v7, v3, vcc
	v_cndmask_b32_e32 v5, v11, v5, vcc
	v_cmp_ge_u32_e32 vcc, v5, v7
	s_or_b64 s[2:3], vcc, s[2:3]
	s_andn2_b64 exec, exec, s[2:3]
	s_cbranch_execnz .LBB17_3
; %bb.4:
	s_or_b64 exec, exec, s[2:3]
.LBB17_5:
	s_or_b64 exec, exec, s[0:1]
	s_load_dwordx2 s[0:1], s[4:5], 0x10
	v_add_u32_e32 v2, v5, v1
	v_mov_b32_e32 v1, 0
	v_lshlrev_b64 v[0:1], 2, v[0:1]
	s_waitcnt lgkmcnt(0)
	v_mov_b32_e32 v3, s1
	v_add_co_u32_e32 v0, vcc, s0, v0
	v_addc_co_u32_e32 v1, vcc, v3, v1, vcc
	global_store_dword v[0:1], v2, off
.LBB17_6:
	s_endpgm
	.section	.rodata,"a",@progbits
	.p2align	6, 0x0
	.amdhsa_kernel _ZN7rocprim17ROCPRIM_304000_NS6detail45device_block_merge_mergepath_partition_kernelINS1_37wrapped_merge_sort_block_merge_configINS0_14default_configEjN2at4cuda3cub6detail10OpaqueTypeILi8EEEEEPjjNS1_19radix_merge_compareILb0ELb0EjNS0_19identity_decomposerEEEEEvT0_T1_jPSH_T2_SH_
		.amdhsa_group_segment_fixed_size 0
		.amdhsa_private_segment_fixed_size 0
		.amdhsa_kernarg_size 32
		.amdhsa_user_sgpr_count 6
		.amdhsa_user_sgpr_private_segment_buffer 1
		.amdhsa_user_sgpr_dispatch_ptr 0
		.amdhsa_user_sgpr_queue_ptr 0
		.amdhsa_user_sgpr_kernarg_segment_ptr 1
		.amdhsa_user_sgpr_dispatch_id 0
		.amdhsa_user_sgpr_flat_scratch_init 0
		.amdhsa_user_sgpr_private_segment_size 0
		.amdhsa_uses_dynamic_stack 0
		.amdhsa_system_sgpr_private_segment_wavefront_offset 0
		.amdhsa_system_sgpr_workgroup_id_x 1
		.amdhsa_system_sgpr_workgroup_id_y 0
		.amdhsa_system_sgpr_workgroup_id_z 0
		.amdhsa_system_sgpr_workgroup_info 0
		.amdhsa_system_vgpr_workitem_id 0
		.amdhsa_next_free_vgpr 17
		.amdhsa_next_free_sgpr 7
		.amdhsa_reserve_vcc 1
		.amdhsa_reserve_flat_scratch 0
		.amdhsa_float_round_mode_32 0
		.amdhsa_float_round_mode_16_64 0
		.amdhsa_float_denorm_mode_32 3
		.amdhsa_float_denorm_mode_16_64 3
		.amdhsa_dx10_clamp 1
		.amdhsa_ieee_mode 1
		.amdhsa_fp16_overflow 0
		.amdhsa_exception_fp_ieee_invalid_op 0
		.amdhsa_exception_fp_denorm_src 0
		.amdhsa_exception_fp_ieee_div_zero 0
		.amdhsa_exception_fp_ieee_overflow 0
		.amdhsa_exception_fp_ieee_underflow 0
		.amdhsa_exception_fp_ieee_inexact 0
		.amdhsa_exception_int_div_zero 0
	.end_amdhsa_kernel
	.section	.text._ZN7rocprim17ROCPRIM_304000_NS6detail45device_block_merge_mergepath_partition_kernelINS1_37wrapped_merge_sort_block_merge_configINS0_14default_configEjN2at4cuda3cub6detail10OpaqueTypeILi8EEEEEPjjNS1_19radix_merge_compareILb0ELb0EjNS0_19identity_decomposerEEEEEvT0_T1_jPSH_T2_SH_,"axG",@progbits,_ZN7rocprim17ROCPRIM_304000_NS6detail45device_block_merge_mergepath_partition_kernelINS1_37wrapped_merge_sort_block_merge_configINS0_14default_configEjN2at4cuda3cub6detail10OpaqueTypeILi8EEEEEPjjNS1_19radix_merge_compareILb0ELb0EjNS0_19identity_decomposerEEEEEvT0_T1_jPSH_T2_SH_,comdat
.Lfunc_end17:
	.size	_ZN7rocprim17ROCPRIM_304000_NS6detail45device_block_merge_mergepath_partition_kernelINS1_37wrapped_merge_sort_block_merge_configINS0_14default_configEjN2at4cuda3cub6detail10OpaqueTypeILi8EEEEEPjjNS1_19radix_merge_compareILb0ELb0EjNS0_19identity_decomposerEEEEEvT0_T1_jPSH_T2_SH_, .Lfunc_end17-_ZN7rocprim17ROCPRIM_304000_NS6detail45device_block_merge_mergepath_partition_kernelINS1_37wrapped_merge_sort_block_merge_configINS0_14default_configEjN2at4cuda3cub6detail10OpaqueTypeILi8EEEEEPjjNS1_19radix_merge_compareILb0ELb0EjNS0_19identity_decomposerEEEEEvT0_T1_jPSH_T2_SH_
                                        ; -- End function
	.set _ZN7rocprim17ROCPRIM_304000_NS6detail45device_block_merge_mergepath_partition_kernelINS1_37wrapped_merge_sort_block_merge_configINS0_14default_configEjN2at4cuda3cub6detail10OpaqueTypeILi8EEEEEPjjNS1_19radix_merge_compareILb0ELb0EjNS0_19identity_decomposerEEEEEvT0_T1_jPSH_T2_SH_.num_vgpr, 17
	.set _ZN7rocprim17ROCPRIM_304000_NS6detail45device_block_merge_mergepath_partition_kernelINS1_37wrapped_merge_sort_block_merge_configINS0_14default_configEjN2at4cuda3cub6detail10OpaqueTypeILi8EEEEEPjjNS1_19radix_merge_compareILb0ELb0EjNS0_19identity_decomposerEEEEEvT0_T1_jPSH_T2_SH_.num_agpr, 0
	.set _ZN7rocprim17ROCPRIM_304000_NS6detail45device_block_merge_mergepath_partition_kernelINS1_37wrapped_merge_sort_block_merge_configINS0_14default_configEjN2at4cuda3cub6detail10OpaqueTypeILi8EEEEEPjjNS1_19radix_merge_compareILb0ELb0EjNS0_19identity_decomposerEEEEEvT0_T1_jPSH_T2_SH_.numbered_sgpr, 7
	.set _ZN7rocprim17ROCPRIM_304000_NS6detail45device_block_merge_mergepath_partition_kernelINS1_37wrapped_merge_sort_block_merge_configINS0_14default_configEjN2at4cuda3cub6detail10OpaqueTypeILi8EEEEEPjjNS1_19radix_merge_compareILb0ELb0EjNS0_19identity_decomposerEEEEEvT0_T1_jPSH_T2_SH_.num_named_barrier, 0
	.set _ZN7rocprim17ROCPRIM_304000_NS6detail45device_block_merge_mergepath_partition_kernelINS1_37wrapped_merge_sort_block_merge_configINS0_14default_configEjN2at4cuda3cub6detail10OpaqueTypeILi8EEEEEPjjNS1_19radix_merge_compareILb0ELb0EjNS0_19identity_decomposerEEEEEvT0_T1_jPSH_T2_SH_.private_seg_size, 0
	.set _ZN7rocprim17ROCPRIM_304000_NS6detail45device_block_merge_mergepath_partition_kernelINS1_37wrapped_merge_sort_block_merge_configINS0_14default_configEjN2at4cuda3cub6detail10OpaqueTypeILi8EEEEEPjjNS1_19radix_merge_compareILb0ELb0EjNS0_19identity_decomposerEEEEEvT0_T1_jPSH_T2_SH_.uses_vcc, 1
	.set _ZN7rocprim17ROCPRIM_304000_NS6detail45device_block_merge_mergepath_partition_kernelINS1_37wrapped_merge_sort_block_merge_configINS0_14default_configEjN2at4cuda3cub6detail10OpaqueTypeILi8EEEEEPjjNS1_19radix_merge_compareILb0ELb0EjNS0_19identity_decomposerEEEEEvT0_T1_jPSH_T2_SH_.uses_flat_scratch, 0
	.set _ZN7rocprim17ROCPRIM_304000_NS6detail45device_block_merge_mergepath_partition_kernelINS1_37wrapped_merge_sort_block_merge_configINS0_14default_configEjN2at4cuda3cub6detail10OpaqueTypeILi8EEEEEPjjNS1_19radix_merge_compareILb0ELb0EjNS0_19identity_decomposerEEEEEvT0_T1_jPSH_T2_SH_.has_dyn_sized_stack, 0
	.set _ZN7rocprim17ROCPRIM_304000_NS6detail45device_block_merge_mergepath_partition_kernelINS1_37wrapped_merge_sort_block_merge_configINS0_14default_configEjN2at4cuda3cub6detail10OpaqueTypeILi8EEEEEPjjNS1_19radix_merge_compareILb0ELb0EjNS0_19identity_decomposerEEEEEvT0_T1_jPSH_T2_SH_.has_recursion, 0
	.set _ZN7rocprim17ROCPRIM_304000_NS6detail45device_block_merge_mergepath_partition_kernelINS1_37wrapped_merge_sort_block_merge_configINS0_14default_configEjN2at4cuda3cub6detail10OpaqueTypeILi8EEEEEPjjNS1_19radix_merge_compareILb0ELb0EjNS0_19identity_decomposerEEEEEvT0_T1_jPSH_T2_SH_.has_indirect_call, 0
	.section	.AMDGPU.csdata,"",@progbits
; Kernel info:
; codeLenInByte = 364
; TotalNumSgprs: 11
; NumVgprs: 17
; ScratchSize: 0
; MemoryBound: 0
; FloatMode: 240
; IeeeMode: 1
; LDSByteSize: 0 bytes/workgroup (compile time only)
; SGPRBlocks: 1
; VGPRBlocks: 4
; NumSGPRsForWavesPerEU: 11
; NumVGPRsForWavesPerEU: 17
; Occupancy: 10
; WaveLimiterHint : 0
; COMPUTE_PGM_RSRC2:SCRATCH_EN: 0
; COMPUTE_PGM_RSRC2:USER_SGPR: 6
; COMPUTE_PGM_RSRC2:TRAP_HANDLER: 0
; COMPUTE_PGM_RSRC2:TGID_X_EN: 1
; COMPUTE_PGM_RSRC2:TGID_Y_EN: 0
; COMPUTE_PGM_RSRC2:TGID_Z_EN: 0
; COMPUTE_PGM_RSRC2:TIDIG_COMP_CNT: 0
	.section	.text._ZN7rocprim17ROCPRIM_304000_NS6detail35device_block_merge_mergepath_kernelINS1_37wrapped_merge_sort_block_merge_configINS0_14default_configEjN2at4cuda3cub6detail10OpaqueTypeILi8EEEEEPjSC_PSA_SD_jNS1_19radix_merge_compareILb0ELb0EjNS0_19identity_decomposerEEEEEvT0_T1_T2_T3_T4_SL_jT5_PKSL_NS1_7vsmem_tE,"axG",@progbits,_ZN7rocprim17ROCPRIM_304000_NS6detail35device_block_merge_mergepath_kernelINS1_37wrapped_merge_sort_block_merge_configINS0_14default_configEjN2at4cuda3cub6detail10OpaqueTypeILi8EEEEEPjSC_PSA_SD_jNS1_19radix_merge_compareILb0ELb0EjNS0_19identity_decomposerEEEEEvT0_T1_T2_T3_T4_SL_jT5_PKSL_NS1_7vsmem_tE,comdat
	.protected	_ZN7rocprim17ROCPRIM_304000_NS6detail35device_block_merge_mergepath_kernelINS1_37wrapped_merge_sort_block_merge_configINS0_14default_configEjN2at4cuda3cub6detail10OpaqueTypeILi8EEEEEPjSC_PSA_SD_jNS1_19radix_merge_compareILb0ELb0EjNS0_19identity_decomposerEEEEEvT0_T1_T2_T3_T4_SL_jT5_PKSL_NS1_7vsmem_tE ; -- Begin function _ZN7rocprim17ROCPRIM_304000_NS6detail35device_block_merge_mergepath_kernelINS1_37wrapped_merge_sort_block_merge_configINS0_14default_configEjN2at4cuda3cub6detail10OpaqueTypeILi8EEEEEPjSC_PSA_SD_jNS1_19radix_merge_compareILb0ELb0EjNS0_19identity_decomposerEEEEEvT0_T1_T2_T3_T4_SL_jT5_PKSL_NS1_7vsmem_tE
	.globl	_ZN7rocprim17ROCPRIM_304000_NS6detail35device_block_merge_mergepath_kernelINS1_37wrapped_merge_sort_block_merge_configINS0_14default_configEjN2at4cuda3cub6detail10OpaqueTypeILi8EEEEEPjSC_PSA_SD_jNS1_19radix_merge_compareILb0ELb0EjNS0_19identity_decomposerEEEEEvT0_T1_T2_T3_T4_SL_jT5_PKSL_NS1_7vsmem_tE
	.p2align	8
	.type	_ZN7rocprim17ROCPRIM_304000_NS6detail35device_block_merge_mergepath_kernelINS1_37wrapped_merge_sort_block_merge_configINS0_14default_configEjN2at4cuda3cub6detail10OpaqueTypeILi8EEEEEPjSC_PSA_SD_jNS1_19radix_merge_compareILb0ELb0EjNS0_19identity_decomposerEEEEEvT0_T1_T2_T3_T4_SL_jT5_PKSL_NS1_7vsmem_tE,@function
_ZN7rocprim17ROCPRIM_304000_NS6detail35device_block_merge_mergepath_kernelINS1_37wrapped_merge_sort_block_merge_configINS0_14default_configEjN2at4cuda3cub6detail10OpaqueTypeILi8EEEEEPjSC_PSA_SD_jNS1_19radix_merge_compareILb0ELb0EjNS0_19identity_decomposerEEEEEvT0_T1_T2_T3_T4_SL_jT5_PKSL_NS1_7vsmem_tE: ; @_ZN7rocprim17ROCPRIM_304000_NS6detail35device_block_merge_mergepath_kernelINS1_37wrapped_merge_sort_block_merge_configINS0_14default_configEjN2at4cuda3cub6detail10OpaqueTypeILi8EEEEEPjSC_PSA_SD_jNS1_19radix_merge_compareILb0ELb0EjNS0_19identity_decomposerEEEEEvT0_T1_T2_T3_T4_SL_jT5_PKSL_NS1_7vsmem_tE
; %bb.0:
	s_load_dwordx2 s[26:27], s[4:5], 0x40
	s_load_dwordx4 s[16:19], s[4:5], 0x20
	s_add_u32 s2, s4, 64
	s_addc_u32 s3, s5, 0
	s_waitcnt lgkmcnt(0)
	s_mul_i32 s0, s27, s8
	s_add_i32 s0, s0, s7
	s_mul_i32 s0, s0, s26
	s_add_i32 s0, s0, s6
	s_cmp_ge_u32 s0, s18
	s_cbranch_scc1 .LBB18_69
; %bb.1:
	s_load_dwordx8 s[8:15], s[4:5], 0x0
	s_load_dwordx2 s[18:19], s[4:5], 0x30
	s_lshr_b32 s27, s16, 9
	s_cmp_lg_u32 s0, s27
	s_mov_b32 s1, 0
	s_cselect_b64 s[20:21], -1, 0
	s_lshl_b64 s[4:5], s[0:1], 2
	s_waitcnt lgkmcnt(0)
	s_add_u32 s4, s18, s4
	s_addc_u32 s5, s19, s5
	s_load_dwordx2 s[22:23], s[4:5], 0x0
	s_lshr_b32 s4, s17, 8
	s_and_b32 s4, s4, 0xfffffe
	s_sub_i32 s4, 0, s4
	s_and_b32 s5, s0, s4
	s_lshl_b32 s7, s5, 9
	s_lshl_b32 s18, s0, 9
	;; [unrolled: 1-line block ×3, first 2 shown]
	s_sub_i32 s19, s18, s7
	s_add_i32 s5, s5, s17
	s_add_i32 s19, s5, s19
	s_waitcnt lgkmcnt(0)
	s_sub_i32 s24, s19, s22
	s_sub_i32 s19, s19, s23
	;; [unrolled: 1-line block ×3, first 2 shown]
	s_min_u32 s24, s16, s24
	s_addk_i32 s19, 0x200
	s_or_b32 s4, s0, s4
	s_min_u32 s7, s16, s5
	s_add_i32 s5, s5, s17
	s_cmp_eq_u32 s4, -1
	s_cselect_b32 s4, s5, s19
	s_cselect_b32 s5, s7, s23
	s_min_u32 s4, s4, s16
	s_mov_b32 s23, s1
	s_sub_i32 s19, s5, s22
	s_sub_i32 s28, s4, s24
	s_lshl_b64 s[30:31], s[22:23], 2
	s_add_u32 s5, s8, s30
	s_mov_b32 s25, s1
	s_addc_u32 s7, s9, s31
	s_lshl_b64 s[30:31], s[24:25], 2
	s_add_u32 s4, s8, s30
	v_mov_b32_e32 v6, 0
	global_load_dword v1, v6, s[2:3] offset:14
	s_addc_u32 s8, s9, s31
	s_cmp_lt_u32 s6, s26
	s_cselect_b32 s1, 12, 18
	s_add_u32 s2, s2, s1
	s_addc_u32 s3, s3, 0
	global_load_ushort v2, v6, s[2:3]
	s_cmp_eq_u32 s0, s27
	v_cmp_gt_u32_e32 vcc, s19, v0
	v_lshlrev_b32_e32 v9, 2, v0
	s_waitcnt vmcnt(1)
	v_lshrrev_b32_e32 v3, 16, v1
	v_and_b32_e32 v1, 0xffff, v1
	v_mul_lo_u32 v1, v1, v3
	s_waitcnt vmcnt(0)
	v_mul_lo_u32 v7, v1, v2
	v_add_u32_e32 v5, v7, v0
	s_cbranch_scc1 .LBB18_3
; %bb.2:
	v_mov_b32_e32 v1, s7
	v_add_co_u32_e64 v3, s[0:1], s5, v9
	v_subrev_u32_e32 v2, s19, v0
	v_addc_co_u32_e64 v1, s[0:1], 0, v1, s[0:1]
	v_lshlrev_b32_e32 v2, 2, v2
	v_mov_b32_e32 v4, s8
	v_add_co_u32_e64 v8, s[0:1], s4, v2
	v_addc_co_u32_e64 v2, s[0:1], 0, v4, s[0:1]
	v_cndmask_b32_e32 v2, v2, v1, vcc
	v_cndmask_b32_e32 v1, v8, v3, vcc
	global_load_dword v1, v[1:2], off
	v_lshlrev_b64 v[2:3], 2, v[5:6]
	v_mov_b32_e32 v4, s7
	v_add_co_u32_e32 v8, vcc, s5, v2
	v_addc_co_u32_e32 v4, vcc, v4, v3, vcc
	v_subrev_co_u32_e32 v2, vcc, s19, v5
	v_mov_b32_e32 v3, v6
	v_lshlrev_b64 v[2:3], 2, v[2:3]
	v_mov_b32_e32 v10, s8
	v_add_co_u32_e64 v2, s[0:1], s4, v2
	v_addc_co_u32_e64 v3, s[0:1], v10, v3, s[0:1]
	v_cndmask_b32_e32 v3, v3, v4, vcc
	v_cndmask_b32_e32 v2, v2, v8, vcc
	v_add_u32_e32 v10, v5, v7
	v_mov_b32_e32 v11, v6
	global_load_dword v2, v[2:3], off
	v_lshlrev_b64 v[3:4], 2, v[10:11]
	v_mov_b32_e32 v8, s7
	v_add_co_u32_e32 v11, vcc, s5, v3
	v_addc_co_u32_e32 v8, vcc, v8, v4, vcc
	v_subrev_co_u32_e32 v3, vcc, s19, v10
	v_mov_b32_e32 v4, v6
	v_lshlrev_b64 v[3:4], 2, v[3:4]
	v_mov_b32_e32 v12, s8
	v_add_co_u32_e64 v3, s[0:1], s4, v3
	v_cndmask_b32_e32 v3, v3, v11, vcc
	v_add_u32_e32 v10, v10, v7
	v_mov_b32_e32 v11, v6
	v_addc_co_u32_e64 v4, s[0:1], v12, v4, s[0:1]
	v_lshlrev_b64 v[11:12], 2, v[10:11]
	v_cndmask_b32_e32 v4, v4, v8, vcc
	global_load_dword v3, v[3:4], off
	v_mov_b32_e32 v4, s7
	v_add_co_u32_e32 v8, vcc, s5, v11
	v_addc_co_u32_e32 v4, vcc, v4, v12, vcc
	v_subrev_co_u32_e32 v10, vcc, s19, v10
	v_mov_b32_e32 v11, v6
	v_lshlrev_b64 v[10:11], 2, v[10:11]
	v_mov_b32_e32 v6, s8
	v_add_co_u32_e64 v10, s[0:1], s4, v10
	v_addc_co_u32_e64 v6, s[0:1], v6, v11, s[0:1]
	v_cndmask_b32_e32 v11, v6, v4, vcc
	v_cndmask_b32_e32 v10, v10, v8, vcc
	global_load_dword v4, v[10:11], off
	s_add_i32 s17, s28, s19
	s_cbranch_execz .LBB18_4
	s_branch .LBB18_13
.LBB18_3:
                                        ; implicit-def: $vgpr1_vgpr2_vgpr3_vgpr4
                                        ; implicit-def: $sgpr17
.LBB18_4:
	s_add_i32 s17, s28, s19
	s_waitcnt vmcnt(3)
	v_mov_b32_e32 v1, 0
	v_cmp_gt_u32_e32 vcc, s17, v0
	s_waitcnt vmcnt(2)
	v_mov_b32_e32 v2, v1
	s_waitcnt vmcnt(1)
	v_mov_b32_e32 v3, v1
	;; [unrolled: 2-line block ×3, first 2 shown]
	s_and_saveexec_b64 s[0:1], vcc
	s_cbranch_execz .LBB18_6
; %bb.5:
	v_mov_b32_e32 v2, s7
	v_add_co_u32_e32 v4, vcc, s5, v9
	v_subrev_u32_e32 v3, s19, v0
	v_addc_co_u32_e32 v2, vcc, 0, v2, vcc
	v_lshlrev_b32_e32 v3, 2, v3
	v_mov_b32_e32 v6, s8
	v_add_co_u32_e32 v8, vcc, s4, v3
	v_addc_co_u32_e32 v3, vcc, 0, v6, vcc
	v_cmp_gt_u32_e32 vcc, s19, v0
	v_cndmask_b32_e32 v3, v3, v2, vcc
	v_cndmask_b32_e32 v2, v8, v4, vcc
	global_load_dword v10, v[2:3], off
	v_mov_b32_e32 v11, v1
	v_mov_b32_e32 v12, v1
	;; [unrolled: 1-line block ×3, first 2 shown]
	s_waitcnt vmcnt(0)
	v_mov_b32_e32 v1, v10
	v_mov_b32_e32 v2, v11
	;; [unrolled: 1-line block ×4, first 2 shown]
.LBB18_6:
	s_or_b64 exec, exec, s[0:1]
	v_cmp_gt_u32_e32 vcc, s17, v5
	s_and_saveexec_b64 s[2:3], vcc
	s_cbranch_execz .LBB18_8
; %bb.7:
	v_mov_b32_e32 v6, 0
	v_lshlrev_b64 v[10:11], 2, v[5:6]
	v_mov_b32_e32 v2, s7
	v_add_co_u32_e32 v8, vcc, s5, v10
	v_addc_co_u32_e32 v2, vcc, v2, v11, vcc
	v_subrev_co_u32_e32 v10, vcc, s19, v5
	v_mov_b32_e32 v11, v6
	v_lshlrev_b64 v[10:11], 2, v[10:11]
	v_mov_b32_e32 v6, s8
	v_add_co_u32_e64 v10, s[0:1], s4, v10
	v_addc_co_u32_e64 v6, s[0:1], v6, v11, s[0:1]
	v_cndmask_b32_e32 v11, v6, v2, vcc
	v_cndmask_b32_e32 v10, v10, v8, vcc
	global_load_dword v2, v[10:11], off
.LBB18_8:
	s_or_b64 exec, exec, s[2:3]
	v_add_u32_e32 v5, v5, v7
	v_cmp_gt_u32_e32 vcc, s17, v5
	s_and_saveexec_b64 s[2:3], vcc
	s_cbranch_execz .LBB18_10
; %bb.9:
	v_mov_b32_e32 v6, 0
	v_lshlrev_b64 v[10:11], 2, v[5:6]
	v_mov_b32_e32 v3, s7
	v_add_co_u32_e32 v8, vcc, s5, v10
	v_addc_co_u32_e32 v3, vcc, v3, v11, vcc
	v_subrev_co_u32_e32 v10, vcc, s19, v5
	v_mov_b32_e32 v11, v6
	v_lshlrev_b64 v[10:11], 2, v[10:11]
	v_mov_b32_e32 v6, s8
	v_add_co_u32_e64 v10, s[0:1], s4, v10
	v_addc_co_u32_e64 v6, s[0:1], v6, v11, s[0:1]
	v_cndmask_b32_e32 v11, v6, v3, vcc
	v_cndmask_b32_e32 v10, v10, v8, vcc
	global_load_dword v3, v[10:11], off
.LBB18_10:
	s_or_b64 exec, exec, s[2:3]
	v_add_u32_e32 v5, v5, v7
	v_cmp_gt_u32_e32 vcc, s17, v5
	s_and_saveexec_b64 s[2:3], vcc
	s_cbranch_execz .LBB18_12
; %bb.11:
	v_mov_b32_e32 v6, 0
	v_lshlrev_b64 v[7:8], 2, v[5:6]
	v_mov_b32_e32 v4, s7
	v_add_co_u32_e32 v7, vcc, s5, v7
	v_addc_co_u32_e32 v8, vcc, v4, v8, vcc
	v_subrev_co_u32_e32 v5, vcc, s19, v5
	v_lshlrev_b64 v[4:5], 2, v[5:6]
	v_mov_b32_e32 v6, s8
	v_add_co_u32_e64 v4, s[0:1], s4, v4
	v_addc_co_u32_e64 v5, s[0:1], v6, v5, s[0:1]
	v_cndmask_b32_e32 v5, v5, v8, vcc
	v_cndmask_b32_e32 v4, v4, v7, vcc
	global_load_dword v4, v[4:5], off
.LBB18_12:
	s_or_b64 exec, exec, s[2:3]
.LBB18_13:
	v_min_u32_e32 v6, s17, v9
	v_sub_u32_e64 v5, v6, s28 clamp
	v_min_u32_e32 v7, s19, v6
	v_cmp_lt_u32_e32 vcc, v5, v7
	s_waitcnt vmcnt(0)
	ds_write2st64_b32 v9, v1, v2 offset1:2
	ds_write2st64_b32 v9, v3, v4 offset0:4 offset1:6
	s_waitcnt lgkmcnt(0)
	s_barrier
	s_and_saveexec_b64 s[0:1], vcc
	s_cbranch_execz .LBB18_17
; %bb.14:
	v_lshlrev_b32_e32 v8, 2, v6
	v_lshl_add_u32 v8, s19, 2, v8
	s_mov_b64 s[2:3], 0
.LBB18_15:                              ; =>This Inner Loop Header: Depth=1
	v_add_u32_e32 v10, v7, v5
	v_lshrrev_b32_e32 v10, 1, v10
	v_not_b32_e32 v11, v10
	v_lshlrev_b32_e32 v12, 2, v10
	v_lshl_add_u32 v11, v11, 2, v8
	ds_read_b32 v12, v12
	ds_read_b32 v11, v11
	v_add_u32_e32 v13, 1, v10
	s_waitcnt lgkmcnt(0)
	v_cmp_gt_u32_e32 vcc, v12, v11
	v_cndmask_b32_e32 v7, v7, v10, vcc
	v_cndmask_b32_e32 v5, v13, v5, vcc
	v_cmp_ge_u32_e32 vcc, v5, v7
	s_or_b64 s[2:3], vcc, s[2:3]
	s_andn2_b64 exec, exec, s[2:3]
	s_cbranch_execnz .LBB18_15
; %bb.16:
	s_or_b64 exec, exec, s[2:3]
.LBB18_17:
	s_or_b64 exec, exec, s[0:1]
	v_sub_u32_e32 v6, v6, v5
	v_add_u32_e32 v6, s19, v6
	v_cmp_ge_u32_e32 vcc, s19, v5
	v_cmp_ge_u32_e64 s[0:1], s17, v6
	s_or_b64 s[0:1], vcc, s[0:1]
	v_mov_b32_e32 v10, 0
	v_mov_b32_e32 v11, 0
	;; [unrolled: 1-line block ×4, first 2 shown]
	s_and_saveexec_b64 s[8:9], s[0:1]
	s_cbranch_execz .LBB18_23
; %bb.18:
	v_cmp_gt_u32_e32 vcc, s19, v5
                                        ; implicit-def: $vgpr1
	s_and_saveexec_b64 s[0:1], vcc
; %bb.19:
	v_lshlrev_b32_e32 v1, 2, v5
	ds_read_b32 v1, v1
; %bb.20:
	s_or_b64 exec, exec, s[0:1]
	v_cmp_le_u32_e64 s[0:1], s17, v6
	v_cmp_gt_u32_e64 s[2:3], s17, v6
                                        ; implicit-def: $vgpr2
	s_and_saveexec_b64 s[4:5], s[2:3]
; %bb.21:
	v_lshlrev_b32_e32 v2, 2, v6
	ds_read_b32 v2, v2
; %bb.22:
	s_or_b64 exec, exec, s[4:5]
	s_waitcnt lgkmcnt(0)
	v_cmp_le_u32_e64 s[2:3], v1, v2
	s_and_b64 s[2:3], vcc, s[2:3]
	s_or_b64 vcc, s[0:1], s[2:3]
	v_mov_b32_e32 v3, s17
	v_mov_b32_e32 v4, s19
	v_cndmask_b32_e32 v13, v6, v5, vcc
	v_cndmask_b32_e32 v7, v3, v4, vcc
	v_add_u32_e32 v8, 1, v13
	v_add_u32_e32 v7, -1, v7
	v_min_u32_e32 v7, v8, v7
	v_lshlrev_b32_e32 v7, 2, v7
	ds_read_b32 v7, v7
	v_cndmask_b32_e32 v5, v5, v8, vcc
	v_cndmask_b32_e32 v6, v8, v6, vcc
	v_cmp_gt_u32_e64 s[2:3], s19, v5
	v_cmp_le_u32_e64 s[0:1], s17, v6
	s_waitcnt lgkmcnt(0)
	v_cndmask_b32_e32 v10, v7, v2, vcc
	v_cndmask_b32_e32 v7, v1, v7, vcc
	v_cmp_le_u32_e64 s[4:5], v7, v10
	s_and_b64 s[2:3], s[2:3], s[4:5]
	s_or_b64 s[0:1], s[0:1], s[2:3]
	v_cndmask_b32_e64 v12, v6, v5, s[0:1]
	v_cndmask_b32_e64 v8, v3, v4, s[0:1]
	v_add_u32_e32 v11, 1, v12
	v_add_u32_e32 v8, -1, v8
	v_min_u32_e32 v8, v11, v8
	v_lshlrev_b32_e32 v8, 2, v8
	ds_read_b32 v8, v8
	v_cndmask_b32_e64 v5, v5, v11, s[0:1]
	v_cndmask_b32_e64 v6, v11, v6, s[0:1]
	v_cmp_gt_u32_e64 s[4:5], s19, v5
	v_cmp_le_u32_e64 s[2:3], s17, v6
	s_waitcnt lgkmcnt(0)
	v_cndmask_b32_e64 v14, v8, v10, s[0:1]
	v_cndmask_b32_e64 v8, v7, v8, s[0:1]
	v_cmp_le_u32_e64 s[6:7], v8, v14
	s_and_b64 s[4:5], s[4:5], s[6:7]
	s_or_b64 s[2:3], s[2:3], s[4:5]
	v_cndmask_b32_e64 v11, v6, v5, s[2:3]
	v_cndmask_b32_e64 v3, v3, v4, s[2:3]
	v_add_u32_e32 v4, 1, v11
	v_add_u32_e32 v3, -1, v3
	v_min_u32_e32 v3, v4, v3
	v_lshlrev_b32_e32 v3, 2, v3
	ds_read_b32 v15, v3
	v_cndmask_b32_e32 v1, v2, v1, vcc
	v_cndmask_b32_e64 v2, v10, v7, s[0:1]
	v_cndmask_b32_e64 v3, v14, v8, s[2:3]
	;; [unrolled: 1-line block ×3, first 2 shown]
	s_waitcnt lgkmcnt(0)
	v_cndmask_b32_e64 v7, v15, v14, s[2:3]
	v_cndmask_b32_e64 v8, v8, v15, s[2:3]
	;; [unrolled: 1-line block ×3, first 2 shown]
	v_cmp_gt_u32_e64 s[0:1], s19, v4
	v_cmp_le_u32_e64 s[2:3], v8, v7
	v_cmp_le_u32_e32 vcc, s17, v6
	s_and_b64 s[0:1], s[0:1], s[2:3]
	s_or_b64 vcc, vcc, s[0:1]
	v_cndmask_b32_e32 v10, v6, v4, vcc
	v_cndmask_b32_e32 v4, v7, v8, vcc
.LBB18_23:
	s_or_b64 exec, exec, s[8:9]
	s_lshl_b64 s[0:1], s[22:23], 3
	s_add_u32 s8, s12, s0
	s_addc_u32 s9, s13, s1
	s_lshl_b64 s[0:1], s[24:25], 3
	s_add_u32 s6, s12, s0
	v_cndmask_b32_e64 v5, 0, 1, s[20:21]
	s_addc_u32 s7, s13, s1
	v_cmp_gt_u32_e64 s[4:5], s19, v0
	v_cmp_ne_u32_e64 s[0:1], 1, v5
	s_andn2_b64 vcc, exec, s[20:21]
	v_cmp_le_u32_e64 s[2:3], s19, v0
	s_barrier
	s_cbranch_vccnz .LBB18_25
; %bb.24:
	v_lshlrev_b32_e32 v8, 3, v0
	v_mov_b32_e32 v5, s9
	v_add_co_u32_e32 v7, vcc, s8, v8
	v_subrev_u32_e32 v6, s19, v0
	v_addc_co_u32_e32 v5, vcc, 0, v5, vcc
	v_lshlrev_b32_e32 v6, 3, v6
	v_mov_b32_e32 v14, s7
	v_add_co_u32_e32 v15, vcc, s6, v6
	v_addc_co_u32_e32 v6, vcc, 0, v14, vcc
	v_cndmask_b32_e64 v6, v6, v5, s[4:5]
	v_cndmask_b32_e64 v5, v15, v7, s[4:5]
	global_load_dwordx2 v[15:16], v[5:6], off
	v_or_b32_e32 v5, 0x80, v0
	v_subrev_u32_e32 v6, s19, v5
	v_min_u32_e32 v6, v5, v6
	v_cmp_gt_u32_e32 vcc, s19, v5
	v_mov_b32_e32 v22, s6
	v_mov_b32_e32 v23, s8
	v_mov_b32_e32 v7, s7
	v_mov_b32_e32 v21, s9
	v_cndmask_b32_e32 v5, v22, v23, vcc
	v_lshlrev_b32_e32 v6, 3, v6
	v_cndmask_b32_e32 v14, v7, v21, vcc
	v_add_co_u32_e32 v5, vcc, v5, v6
	v_addc_co_u32_e32 v6, vcc, 0, v14, vcc
	global_load_dwordx2 v[17:18], v[5:6], off
	v_or_b32_e32 v5, 0x100, v0
	v_subrev_u32_e32 v6, s19, v5
	v_min_u32_e32 v6, v5, v6
	v_cmp_gt_u32_e32 vcc, s19, v5
	v_cndmask_b32_e32 v5, v22, v23, vcc
	v_lshlrev_b32_e32 v6, 3, v6
	v_cndmask_b32_e32 v14, v7, v21, vcc
	v_add_co_u32_e32 v5, vcc, v5, v6
	v_addc_co_u32_e32 v6, vcc, 0, v14, vcc
	global_load_dwordx2 v[19:20], v[5:6], off
	v_or_b32_e32 v14, 0x180, v0
	v_subrev_u32_e32 v5, s19, v14
	v_cmp_gt_u32_e32 vcc, s19, v14
	v_cndmask_b32_e32 v6, v7, v21, vcc
	v_min_u32_e32 v7, v14, v5
	v_cndmask_b32_e32 v5, v22, v23, vcc
	s_mov_b64 s[4:5], -1
	s_waitcnt vmcnt(1)
	ds_write2st64_b64 v8, v[15:16], v[17:18] offset1:2
	s_waitcnt vmcnt(0)
	ds_write_b64 v8, v[19:20] offset:2048
	s_cbranch_execz .LBB18_26
	s_branch .LBB18_43
.LBB18_25:
	s_mov_b64 s[4:5], 0
                                        ; implicit-def: $vgpr14
                                        ; implicit-def: $vgpr5_vgpr6
                                        ; implicit-def: $vgpr7
.LBB18_26:
	s_and_saveexec_b64 s[4:5], s[2:3]
	s_xor_b64 s[2:3], exec, s[4:5]
	s_cbranch_execz .LBB18_30
; %bb.27:
	v_subrev_u32_e32 v5, s19, v0
	v_cmp_gt_u32_e32 vcc, s28, v5
	s_and_saveexec_b64 s[4:5], vcc
	s_cbranch_execz .LBB18_29
; %bb.28:
	v_lshlrev_b32_e32 v5, 3, v5
	global_load_dwordx2 v[5:6], v5, s[6:7]
	v_add_u32_e32 v7, v9, v9
	s_waitcnt vmcnt(0)
	ds_write_b64 v7, v[5:6]
.LBB18_29:
	s_or_b64 exec, exec, s[4:5]
.LBB18_30:
	s_or_saveexec_b64 s[2:3], s[2:3]
	v_add_u32_e32 v7, v9, v9
	s_xor_b64 exec, exec, s[2:3]
	s_cbranch_execz .LBB18_32
; %bb.31:
	v_lshlrev_b32_e32 v5, 3, v0
	global_load_dwordx2 v[5:6], v5, s[8:9]
	s_waitcnt vmcnt(0)
	ds_write_b64 v7, v[5:6]
.LBB18_32:
	s_or_b64 exec, exec, s[2:3]
	v_or_b32_e32 v8, 0x80, v0
	v_mov_b32_e32 v5, s22
	v_cmp_le_u32_e32 vcc, s19, v8
	s_mov_b64 s[2:3], -1
	v_mov_b32_e32 v6, s23
	s_and_saveexec_b64 s[4:5], vcc
; %bb.33:
	v_subrev_u32_e32 v8, s19, v8
	v_cmp_gt_u32_e32 vcc, s28, v8
	v_mov_b32_e32 v5, s24
	v_mov_b32_e32 v6, s25
	s_orn2_b64 s[2:3], vcc, exec
; %bb.34:
	s_or_b64 exec, exec, s[4:5]
	s_and_saveexec_b64 s[4:5], s[2:3]
	s_cbranch_execz .LBB18_36
; %bb.35:
	v_lshlrev_b64 v[5:6], 3, v[5:6]
	v_mov_b32_e32 v14, s13
	v_add_co_u32_e32 v5, vcc, s12, v5
	v_addc_co_u32_e32 v6, vcc, v14, v6, vcc
	v_lshlrev_b32_e32 v8, 3, v8
	v_add_co_u32_e32 v5, vcc, v5, v8
	v_addc_co_u32_e32 v6, vcc, 0, v6, vcc
	global_load_dwordx2 v[5:6], v[5:6], off
	s_waitcnt vmcnt(0)
	ds_write_b64 v7, v[5:6] offset:1024
.LBB18_36:
	s_or_b64 exec, exec, s[4:5]
	v_or_b32_e32 v8, 0x100, v0
	v_mov_b32_e32 v5, s22
	v_cmp_le_u32_e32 vcc, s19, v8
	s_mov_b64 s[2:3], -1
	v_mov_b32_e32 v6, s23
	s_and_saveexec_b64 s[4:5], vcc
; %bb.37:
	v_subrev_u32_e32 v8, s19, v8
	v_cmp_gt_u32_e32 vcc, s28, v8
	v_mov_b32_e32 v5, s24
	v_mov_b32_e32 v6, s25
	s_orn2_b64 s[2:3], vcc, exec
; %bb.38:
	s_or_b64 exec, exec, s[4:5]
	s_and_saveexec_b64 s[4:5], s[2:3]
	s_cbranch_execz .LBB18_40
; %bb.39:
	v_lshlrev_b64 v[5:6], 3, v[5:6]
	v_mov_b32_e32 v14, s13
	v_add_co_u32_e32 v5, vcc, s12, v5
	v_addc_co_u32_e32 v6, vcc, v14, v6, vcc
	v_lshlrev_b32_e32 v8, 3, v8
	v_add_co_u32_e32 v5, vcc, v5, v8
	v_addc_co_u32_e32 v6, vcc, 0, v6, vcc
	global_load_dwordx2 v[5:6], v[5:6], off
	s_waitcnt vmcnt(0)
	ds_write_b64 v7, v[5:6] offset:2048
.LBB18_40:
	s_or_b64 exec, exec, s[4:5]
	v_or_b32_e32 v14, 0x180, v0
	v_mov_b32_e32 v5, s8
	v_cmp_le_u32_e32 vcc, s19, v14
	s_mov_b64 s[4:5], -1
	v_mov_b32_e32 v6, s9
	v_mov_b32_e32 v7, v14
	s_and_saveexec_b64 s[2:3], vcc
; %bb.41:
	v_subrev_u32_e32 v7, s19, v14
	v_cmp_gt_u32_e32 vcc, s28, v7
	v_mov_b32_e32 v5, s6
	v_mov_b32_e32 v6, s7
	s_orn2_b64 s[4:5], vcc, exec
; %bb.42:
	s_or_b64 exec, exec, s[2:3]
.LBB18_43:
	s_and_saveexec_b64 s[2:3], s[4:5]
	s_cbranch_execz .LBB18_45
; %bb.44:
	v_mov_b32_e32 v8, 0
	v_lshlrev_b64 v[7:8], 3, v[7:8]
	v_add_co_u32_e32 v5, vcc, v5, v7
	v_addc_co_u32_e32 v6, vcc, v6, v8, vcc
	global_load_dwordx2 v[5:6], v[5:6], off
	v_lshlrev_b32_e32 v7, 3, v14
	s_waitcnt vmcnt(0)
	ds_write_b64 v7, v[5:6]
.LBB18_45:
	s_or_b64 exec, exec, s[2:3]
	s_and_b64 vcc, exec, s[0:1]
	v_add_u32_e32 v5, s18, v9
	s_waitcnt lgkmcnt(0)
	s_barrier
	s_cbranch_vccnz .LBB18_47
; %bb.46:
	v_lshlrev_b32_e32 v14, 3, v13
	v_lshlrev_b32_e32 v16, 3, v12
	;; [unrolled: 1-line block ×3, first 2 shown]
	v_mov_b32_e32 v6, 0
	ds_read_b64 v[14:15], v14
	ds_read_b64 v[16:17], v16
	;; [unrolled: 1-line block ×3, first 2 shown]
	v_lshlrev_b64 v[7:8], 3, v[5:6]
	v_mov_b32_e32 v20, s15
	v_add_co_u32_e32 v7, vcc, s14, v7
	v_addc_co_u32_e32 v8, vcc, v20, v8, vcc
	s_mov_b64 s[0:1], -1
	s_waitcnt lgkmcnt(1)
	global_store_dwordx4 v[7:8], v[14:17], off
	s_waitcnt lgkmcnt(0)
	global_store_dwordx2 v[7:8], v[18:19], off offset:16
	s_cbranch_execz .LBB18_48
	s_branch .LBB18_57
.LBB18_47:
	s_mov_b64 s[0:1], 0
.LBB18_48:
	v_cmp_gt_u32_e32 vcc, s17, v9
	s_and_saveexec_b64 s[2:3], vcc
	s_cbranch_execz .LBB18_50
; %bb.49:
	v_lshlrev_b32_e32 v8, 3, v13
	v_mov_b32_e32 v6, 0
	ds_read_b64 v[13:14], v8
	v_lshlrev_b64 v[6:7], 3, v[5:6]
	v_mov_b32_e32 v15, s15
	v_add_co_u32_e32 v6, vcc, s14, v6
	v_addc_co_u32_e32 v7, vcc, v15, v7, vcc
	s_waitcnt lgkmcnt(0)
	global_store_dwordx2 v[6:7], v[13:14], off
.LBB18_50:
	s_or_b64 exec, exec, s[2:3]
	v_or_b32_e32 v6, 1, v9
	v_cmp_gt_u32_e32 vcc, s17, v6
	s_and_saveexec_b64 s[2:3], vcc
	s_cbranch_execz .LBB18_52
; %bb.51:
	v_lshlrev_b32_e32 v8, 3, v12
	v_mov_b32_e32 v6, 0
	ds_read_b64 v[12:13], v8
	v_lshlrev_b64 v[6:7], 3, v[5:6]
	v_mov_b32_e32 v14, s15
	v_add_co_u32_e32 v6, vcc, s14, v6
	v_addc_co_u32_e32 v7, vcc, v14, v7, vcc
	s_waitcnt lgkmcnt(0)
	global_store_dwordx2 v[6:7], v[12:13], off offset:8
.LBB18_52:
	s_or_b64 exec, exec, s[2:3]
	v_or_b32_e32 v6, 2, v9
	v_cmp_gt_u32_e32 vcc, s17, v6
	s_and_saveexec_b64 s[2:3], vcc
	s_cbranch_execz .LBB18_54
; %bb.53:
	v_lshlrev_b32_e32 v8, 3, v11
	v_mov_b32_e32 v6, 0
	ds_read_b64 v[11:12], v8
	v_lshlrev_b64 v[6:7], 3, v[5:6]
	v_mov_b32_e32 v13, s15
	v_add_co_u32_e32 v6, vcc, s14, v6
	v_addc_co_u32_e32 v7, vcc, v13, v7, vcc
	s_waitcnt lgkmcnt(0)
	global_store_dwordx2 v[6:7], v[11:12], off offset:16
.LBB18_54:
	s_or_b64 exec, exec, s[2:3]
	v_or_b32_e32 v6, 3, v9
	v_cmp_gt_u32_e32 vcc, s17, v6
	s_and_saveexec_b64 s[2:3], vcc
; %bb.55:
	v_mov_b32_e32 v6, 0
	s_or_b64 s[0:1], s[0:1], exec
; %bb.56:
	s_or_b64 exec, exec, s[2:3]
.LBB18_57:
	s_and_saveexec_b64 s[2:3], s[0:1]
	s_cbranch_execz .LBB18_59
; %bb.58:
	v_lshlrev_b32_e32 v7, 3, v10
	ds_read_b64 v[7:8], v7
	v_lshlrev_b64 v[5:6], 3, v[5:6]
	v_mov_b32_e32 v10, s15
	v_add_co_u32_e32 v5, vcc, s14, v5
	v_addc_co_u32_e32 v6, vcc, v10, v6, vcc
	s_waitcnt lgkmcnt(0)
	global_store_dwordx2 v[5:6], v[7:8], off offset:24
.LBB18_59:
	s_or_b64 exec, exec, s[2:3]
	v_lshrrev_b32_e32 v5, 3, v0
	v_lshlrev_b32_e32 v6, 2, v9
	v_lshl_add_u32 v6, v5, 2, v6
	s_waitcnt vmcnt(0)
	s_barrier
	s_barrier
	ds_write2_b32 v6, v1, v2 offset1:1
	ds_write2_b32 v6, v3, v4 offset0:2 offset1:3
	v_and_b32_e32 v1, 12, v5
	v_or_b32_e32 v5, 0x80, v0
	v_add_u32_e32 v7, v1, v9
	v_lshrrev_b32_e32 v1, 3, v5
	v_and_b32_e32 v1, 28, v1
	v_or_b32_e32 v4, 0x100, v0
	s_mov_b32 s19, 0
	v_add_u32_e32 v8, v1, v9
	v_lshrrev_b32_e32 v1, 3, v4
	s_lshl_b64 s[0:1], s[18:19], 2
	v_and_b32_e32 v1, 44, v1
	v_or_b32_e32 v3, 0x180, v0
	s_add_u32 s0, s10, s0
	v_add_u32_e32 v10, v1, v9
	v_lshrrev_b32_e32 v1, 3, v3
	s_addc_u32 s1, s11, s1
	v_and_b32_e32 v1, 60, v1
	v_add_u32_e32 v11, v1, v9
	v_mov_b32_e32 v2, s1
	v_add_co_u32_e32 v1, vcc, s0, v9
	v_addc_co_u32_e32 v2, vcc, 0, v2, vcc
	s_and_b64 vcc, exec, s[20:21]
	s_waitcnt lgkmcnt(0)
	s_cbranch_vccz .LBB18_61
; %bb.60:
	s_barrier
	ds_read_b32 v9, v7
	ds_read_b32 v12, v8 offset:512
	ds_read_b32 v13, v10 offset:1024
	;; [unrolled: 1-line block ×3, first 2 shown]
	s_waitcnt lgkmcnt(3)
	global_store_dword v[1:2], v9, off
	s_waitcnt lgkmcnt(2)
	global_store_dword v[1:2], v12, off offset:512
	s_waitcnt lgkmcnt(1)
	global_store_dword v[1:2], v13, off offset:1024
	s_mov_b64 s[0:1], -1
	s_cbranch_execz .LBB18_62
	s_branch .LBB18_67
.LBB18_61:
	s_mov_b64 s[0:1], 0
                                        ; implicit-def: $vgpr6
.LBB18_62:
	s_waitcnt vmcnt(0) lgkmcnt(0)
	s_barrier
	ds_read_b32 v9, v8 offset:512
	ds_read_b32 v8, v10 offset:1024
	;; [unrolled: 1-line block ×3, first 2 shown]
	s_sub_i32 s2, s16, s18
	v_cmp_gt_u32_e32 vcc, s2, v0
	s_and_saveexec_b64 s[0:1], vcc
	s_cbranch_execnz .LBB18_70
; %bb.63:
	s_or_b64 exec, exec, s[0:1]
	v_cmp_gt_u32_e32 vcc, s2, v5
	s_and_saveexec_b64 s[0:1], vcc
	s_cbranch_execnz .LBB18_71
.LBB18_64:
	s_or_b64 exec, exec, s[0:1]
	v_cmp_gt_u32_e32 vcc, s2, v4
	s_and_saveexec_b64 s[0:1], vcc
	s_cbranch_execz .LBB18_66
.LBB18_65:
	s_waitcnt lgkmcnt(1)
	global_store_dword v[1:2], v8, off offset:1024
.LBB18_66:
	s_or_b64 exec, exec, s[0:1]
	v_cmp_gt_u32_e64 s[0:1], s2, v3
.LBB18_67:
	s_and_saveexec_b64 s[2:3], s[0:1]
	s_cbranch_execz .LBB18_69
; %bb.68:
	s_waitcnt lgkmcnt(0)
	global_store_dword v[1:2], v6, off offset:1536
.LBB18_69:
	s_endpgm
.LBB18_70:
	ds_read_b32 v0, v7
	s_waitcnt lgkmcnt(0)
	global_store_dword v[1:2], v0, off
	s_or_b64 exec, exec, s[0:1]
	v_cmp_gt_u32_e32 vcc, s2, v5
	s_and_saveexec_b64 s[0:1], vcc
	s_cbranch_execz .LBB18_64
.LBB18_71:
	s_waitcnt lgkmcnt(2)
	global_store_dword v[1:2], v9, off offset:512
	s_or_b64 exec, exec, s[0:1]
	v_cmp_gt_u32_e32 vcc, s2, v4
	s_and_saveexec_b64 s[0:1], vcc
	s_cbranch_execnz .LBB18_65
	s_branch .LBB18_66
	.section	.rodata,"a",@progbits
	.p2align	6, 0x0
	.amdhsa_kernel _ZN7rocprim17ROCPRIM_304000_NS6detail35device_block_merge_mergepath_kernelINS1_37wrapped_merge_sort_block_merge_configINS0_14default_configEjN2at4cuda3cub6detail10OpaqueTypeILi8EEEEEPjSC_PSA_SD_jNS1_19radix_merge_compareILb0ELb0EjNS0_19identity_decomposerEEEEEvT0_T1_T2_T3_T4_SL_jT5_PKSL_NS1_7vsmem_tE
		.amdhsa_group_segment_fixed_size 4112
		.amdhsa_private_segment_fixed_size 0
		.amdhsa_kernarg_size 320
		.amdhsa_user_sgpr_count 6
		.amdhsa_user_sgpr_private_segment_buffer 1
		.amdhsa_user_sgpr_dispatch_ptr 0
		.amdhsa_user_sgpr_queue_ptr 0
		.amdhsa_user_sgpr_kernarg_segment_ptr 1
		.amdhsa_user_sgpr_dispatch_id 0
		.amdhsa_user_sgpr_flat_scratch_init 0
		.amdhsa_user_sgpr_private_segment_size 0
		.amdhsa_uses_dynamic_stack 0
		.amdhsa_system_sgpr_private_segment_wavefront_offset 0
		.amdhsa_system_sgpr_workgroup_id_x 1
		.amdhsa_system_sgpr_workgroup_id_y 1
		.amdhsa_system_sgpr_workgroup_id_z 1
		.amdhsa_system_sgpr_workgroup_info 0
		.amdhsa_system_vgpr_workitem_id 0
		.amdhsa_next_free_vgpr 29
		.amdhsa_next_free_sgpr 61
		.amdhsa_reserve_vcc 1
		.amdhsa_reserve_flat_scratch 0
		.amdhsa_float_round_mode_32 0
		.amdhsa_float_round_mode_16_64 0
		.amdhsa_float_denorm_mode_32 3
		.amdhsa_float_denorm_mode_16_64 3
		.amdhsa_dx10_clamp 1
		.amdhsa_ieee_mode 1
		.amdhsa_fp16_overflow 0
		.amdhsa_exception_fp_ieee_invalid_op 0
		.amdhsa_exception_fp_denorm_src 0
		.amdhsa_exception_fp_ieee_div_zero 0
		.amdhsa_exception_fp_ieee_overflow 0
		.amdhsa_exception_fp_ieee_underflow 0
		.amdhsa_exception_fp_ieee_inexact 0
		.amdhsa_exception_int_div_zero 0
	.end_amdhsa_kernel
	.section	.text._ZN7rocprim17ROCPRIM_304000_NS6detail35device_block_merge_mergepath_kernelINS1_37wrapped_merge_sort_block_merge_configINS0_14default_configEjN2at4cuda3cub6detail10OpaqueTypeILi8EEEEEPjSC_PSA_SD_jNS1_19radix_merge_compareILb0ELb0EjNS0_19identity_decomposerEEEEEvT0_T1_T2_T3_T4_SL_jT5_PKSL_NS1_7vsmem_tE,"axG",@progbits,_ZN7rocprim17ROCPRIM_304000_NS6detail35device_block_merge_mergepath_kernelINS1_37wrapped_merge_sort_block_merge_configINS0_14default_configEjN2at4cuda3cub6detail10OpaqueTypeILi8EEEEEPjSC_PSA_SD_jNS1_19radix_merge_compareILb0ELb0EjNS0_19identity_decomposerEEEEEvT0_T1_T2_T3_T4_SL_jT5_PKSL_NS1_7vsmem_tE,comdat
.Lfunc_end18:
	.size	_ZN7rocprim17ROCPRIM_304000_NS6detail35device_block_merge_mergepath_kernelINS1_37wrapped_merge_sort_block_merge_configINS0_14default_configEjN2at4cuda3cub6detail10OpaqueTypeILi8EEEEEPjSC_PSA_SD_jNS1_19radix_merge_compareILb0ELb0EjNS0_19identity_decomposerEEEEEvT0_T1_T2_T3_T4_SL_jT5_PKSL_NS1_7vsmem_tE, .Lfunc_end18-_ZN7rocprim17ROCPRIM_304000_NS6detail35device_block_merge_mergepath_kernelINS1_37wrapped_merge_sort_block_merge_configINS0_14default_configEjN2at4cuda3cub6detail10OpaqueTypeILi8EEEEEPjSC_PSA_SD_jNS1_19radix_merge_compareILb0ELb0EjNS0_19identity_decomposerEEEEEvT0_T1_T2_T3_T4_SL_jT5_PKSL_NS1_7vsmem_tE
                                        ; -- End function
	.set _ZN7rocprim17ROCPRIM_304000_NS6detail35device_block_merge_mergepath_kernelINS1_37wrapped_merge_sort_block_merge_configINS0_14default_configEjN2at4cuda3cub6detail10OpaqueTypeILi8EEEEEPjSC_PSA_SD_jNS1_19radix_merge_compareILb0ELb0EjNS0_19identity_decomposerEEEEEvT0_T1_T2_T3_T4_SL_jT5_PKSL_NS1_7vsmem_tE.num_vgpr, 24
	.set _ZN7rocprim17ROCPRIM_304000_NS6detail35device_block_merge_mergepath_kernelINS1_37wrapped_merge_sort_block_merge_configINS0_14default_configEjN2at4cuda3cub6detail10OpaqueTypeILi8EEEEEPjSC_PSA_SD_jNS1_19radix_merge_compareILb0ELb0EjNS0_19identity_decomposerEEEEEvT0_T1_T2_T3_T4_SL_jT5_PKSL_NS1_7vsmem_tE.num_agpr, 0
	.set _ZN7rocprim17ROCPRIM_304000_NS6detail35device_block_merge_mergepath_kernelINS1_37wrapped_merge_sort_block_merge_configINS0_14default_configEjN2at4cuda3cub6detail10OpaqueTypeILi8EEEEEPjSC_PSA_SD_jNS1_19radix_merge_compareILb0ELb0EjNS0_19identity_decomposerEEEEEvT0_T1_T2_T3_T4_SL_jT5_PKSL_NS1_7vsmem_tE.numbered_sgpr, 32
	.set _ZN7rocprim17ROCPRIM_304000_NS6detail35device_block_merge_mergepath_kernelINS1_37wrapped_merge_sort_block_merge_configINS0_14default_configEjN2at4cuda3cub6detail10OpaqueTypeILi8EEEEEPjSC_PSA_SD_jNS1_19radix_merge_compareILb0ELb0EjNS0_19identity_decomposerEEEEEvT0_T1_T2_T3_T4_SL_jT5_PKSL_NS1_7vsmem_tE.num_named_barrier, 0
	.set _ZN7rocprim17ROCPRIM_304000_NS6detail35device_block_merge_mergepath_kernelINS1_37wrapped_merge_sort_block_merge_configINS0_14default_configEjN2at4cuda3cub6detail10OpaqueTypeILi8EEEEEPjSC_PSA_SD_jNS1_19radix_merge_compareILb0ELb0EjNS0_19identity_decomposerEEEEEvT0_T1_T2_T3_T4_SL_jT5_PKSL_NS1_7vsmem_tE.private_seg_size, 0
	.set _ZN7rocprim17ROCPRIM_304000_NS6detail35device_block_merge_mergepath_kernelINS1_37wrapped_merge_sort_block_merge_configINS0_14default_configEjN2at4cuda3cub6detail10OpaqueTypeILi8EEEEEPjSC_PSA_SD_jNS1_19radix_merge_compareILb0ELb0EjNS0_19identity_decomposerEEEEEvT0_T1_T2_T3_T4_SL_jT5_PKSL_NS1_7vsmem_tE.uses_vcc, 1
	.set _ZN7rocprim17ROCPRIM_304000_NS6detail35device_block_merge_mergepath_kernelINS1_37wrapped_merge_sort_block_merge_configINS0_14default_configEjN2at4cuda3cub6detail10OpaqueTypeILi8EEEEEPjSC_PSA_SD_jNS1_19radix_merge_compareILb0ELb0EjNS0_19identity_decomposerEEEEEvT0_T1_T2_T3_T4_SL_jT5_PKSL_NS1_7vsmem_tE.uses_flat_scratch, 0
	.set _ZN7rocprim17ROCPRIM_304000_NS6detail35device_block_merge_mergepath_kernelINS1_37wrapped_merge_sort_block_merge_configINS0_14default_configEjN2at4cuda3cub6detail10OpaqueTypeILi8EEEEEPjSC_PSA_SD_jNS1_19radix_merge_compareILb0ELb0EjNS0_19identity_decomposerEEEEEvT0_T1_T2_T3_T4_SL_jT5_PKSL_NS1_7vsmem_tE.has_dyn_sized_stack, 0
	.set _ZN7rocprim17ROCPRIM_304000_NS6detail35device_block_merge_mergepath_kernelINS1_37wrapped_merge_sort_block_merge_configINS0_14default_configEjN2at4cuda3cub6detail10OpaqueTypeILi8EEEEEPjSC_PSA_SD_jNS1_19radix_merge_compareILb0ELb0EjNS0_19identity_decomposerEEEEEvT0_T1_T2_T3_T4_SL_jT5_PKSL_NS1_7vsmem_tE.has_recursion, 0
	.set _ZN7rocprim17ROCPRIM_304000_NS6detail35device_block_merge_mergepath_kernelINS1_37wrapped_merge_sort_block_merge_configINS0_14default_configEjN2at4cuda3cub6detail10OpaqueTypeILi8EEEEEPjSC_PSA_SD_jNS1_19radix_merge_compareILb0ELb0EjNS0_19identity_decomposerEEEEEvT0_T1_T2_T3_T4_SL_jT5_PKSL_NS1_7vsmem_tE.has_indirect_call, 0
	.section	.AMDGPU.csdata,"",@progbits
; Kernel info:
; codeLenInByte = 3272
; TotalNumSgprs: 36
; NumVgprs: 24
; ScratchSize: 0
; MemoryBound: 0
; FloatMode: 240
; IeeeMode: 1
; LDSByteSize: 4112 bytes/workgroup (compile time only)
; SGPRBlocks: 8
; VGPRBlocks: 7
; NumSGPRsForWavesPerEU: 65
; NumVGPRsForWavesPerEU: 29
; Occupancy: 8
; WaveLimiterHint : 1
; COMPUTE_PGM_RSRC2:SCRATCH_EN: 0
; COMPUTE_PGM_RSRC2:USER_SGPR: 6
; COMPUTE_PGM_RSRC2:TRAP_HANDLER: 0
; COMPUTE_PGM_RSRC2:TGID_X_EN: 1
; COMPUTE_PGM_RSRC2:TGID_Y_EN: 1
; COMPUTE_PGM_RSRC2:TGID_Z_EN: 1
; COMPUTE_PGM_RSRC2:TIDIG_COMP_CNT: 0
	.section	.text._ZN7rocprim17ROCPRIM_304000_NS6detail33device_block_merge_oddeven_kernelINS1_37wrapped_merge_sort_block_merge_configINS0_14default_configEjN2at4cuda3cub6detail10OpaqueTypeILi8EEEEEPjSC_PSA_SD_jNS1_19radix_merge_compareILb0ELb0EjNS0_19identity_decomposerEEEEEvT0_T1_T2_T3_T4_SL_T5_,"axG",@progbits,_ZN7rocprim17ROCPRIM_304000_NS6detail33device_block_merge_oddeven_kernelINS1_37wrapped_merge_sort_block_merge_configINS0_14default_configEjN2at4cuda3cub6detail10OpaqueTypeILi8EEEEEPjSC_PSA_SD_jNS1_19radix_merge_compareILb0ELb0EjNS0_19identity_decomposerEEEEEvT0_T1_T2_T3_T4_SL_T5_,comdat
	.protected	_ZN7rocprim17ROCPRIM_304000_NS6detail33device_block_merge_oddeven_kernelINS1_37wrapped_merge_sort_block_merge_configINS0_14default_configEjN2at4cuda3cub6detail10OpaqueTypeILi8EEEEEPjSC_PSA_SD_jNS1_19radix_merge_compareILb0ELb0EjNS0_19identity_decomposerEEEEEvT0_T1_T2_T3_T4_SL_T5_ ; -- Begin function _ZN7rocprim17ROCPRIM_304000_NS6detail33device_block_merge_oddeven_kernelINS1_37wrapped_merge_sort_block_merge_configINS0_14default_configEjN2at4cuda3cub6detail10OpaqueTypeILi8EEEEEPjSC_PSA_SD_jNS1_19radix_merge_compareILb0ELb0EjNS0_19identity_decomposerEEEEEvT0_T1_T2_T3_T4_SL_T5_
	.globl	_ZN7rocprim17ROCPRIM_304000_NS6detail33device_block_merge_oddeven_kernelINS1_37wrapped_merge_sort_block_merge_configINS0_14default_configEjN2at4cuda3cub6detail10OpaqueTypeILi8EEEEEPjSC_PSA_SD_jNS1_19radix_merge_compareILb0ELb0EjNS0_19identity_decomposerEEEEEvT0_T1_T2_T3_T4_SL_T5_
	.p2align	8
	.type	_ZN7rocprim17ROCPRIM_304000_NS6detail33device_block_merge_oddeven_kernelINS1_37wrapped_merge_sort_block_merge_configINS0_14default_configEjN2at4cuda3cub6detail10OpaqueTypeILi8EEEEEPjSC_PSA_SD_jNS1_19radix_merge_compareILb0ELb0EjNS0_19identity_decomposerEEEEEvT0_T1_T2_T3_T4_SL_T5_,@function
_ZN7rocprim17ROCPRIM_304000_NS6detail33device_block_merge_oddeven_kernelINS1_37wrapped_merge_sort_block_merge_configINS0_14default_configEjN2at4cuda3cub6detail10OpaqueTypeILi8EEEEEPjSC_PSA_SD_jNS1_19radix_merge_compareILb0ELb0EjNS0_19identity_decomposerEEEEEvT0_T1_T2_T3_T4_SL_T5_: ; @_ZN7rocprim17ROCPRIM_304000_NS6detail33device_block_merge_oddeven_kernelINS1_37wrapped_merge_sort_block_merge_configINS0_14default_configEjN2at4cuda3cub6detail10OpaqueTypeILi8EEEEEPjSC_PSA_SD_jNS1_19radix_merge_compareILb0ELb0EjNS0_19identity_decomposerEEEEEvT0_T1_T2_T3_T4_SL_T5_
; %bb.0:
	s_load_dwordx2 s[18:19], s[4:5], 0x20
	s_waitcnt lgkmcnt(0)
	s_lshr_b32 s0, s18, 7
	s_cmp_eq_u32 s6, s0
	s_cselect_b64 s[16:17], -1, 0
	s_cmp_lg_u32 s6, s0
	s_cselect_b64 s[0:1], -1, 0
	s_lshl_b32 s20, s6, 7
	s_sub_i32 s2, s18, s20
	v_cmp_gt_u32_e64 s[2:3], s2, v0
	s_or_b64 s[0:1], s[0:1], s[2:3]
	s_and_saveexec_b64 s[8:9], s[0:1]
	s_cbranch_execz .LBB19_24
; %bb.1:
	s_load_dwordx8 s[8:15], s[4:5], 0x0
	s_mov_b32 s21, 0
	s_lshl_b64 s[0:1], s[20:21], 2
	v_lshlrev_b32_e32 v4, 3, v0
	v_lshlrev_b32_e32 v3, 2, v0
	s_waitcnt lgkmcnt(0)
	s_add_u32 s0, s8, s0
	s_addc_u32 s1, s9, s1
	s_lshl_b64 s[4:5], s[20:21], 3
	s_add_u32 s4, s12, s4
	s_addc_u32 s5, s13, s5
	global_load_dwordx2 v[1:2], v4, s[4:5]
	global_load_dword v5, v3, s[0:1]
	s_lshr_b32 s0, s19, 7
	s_sub_i32 s1, 0, s0
	s_and_b32 s1, s6, s1
	s_and_b32 s0, s1, s0
	s_lshl_b32 s13, s1, 7
	s_sub_i32 s6, 0, s19
	s_cmp_eq_u32 s0, 0
	s_cselect_b64 s[0:1], -1, 0
	s_and_b64 s[4:5], s[0:1], exec
	s_cselect_b32 s6, s19, s6
	s_add_i32 s6, s6, s13
	s_mov_b64 s[4:5], -1
	s_cmp_gt_u32 s18, s6
	v_add_u32_e32 v3, s20, v0
	s_cbranch_scc1 .LBB19_9
; %bb.2:
	s_and_b64 vcc, exec, s[16:17]
	s_cbranch_vccz .LBB19_6
; %bb.3:
	v_cmp_gt_u32_e32 vcc, s18, v3
	s_and_saveexec_b64 s[4:5], vcc
	s_cbranch_execz .LBB19_5
; %bb.4:
	v_mov_b32_e32 v4, 0
	v_lshlrev_b64 v[6:7], 3, v[3:4]
	v_mov_b32_e32 v0, s15
	v_add_co_u32_e32 v6, vcc, s14, v6
	v_lshlrev_b64 v[8:9], 2, v[3:4]
	v_addc_co_u32_e32 v7, vcc, v0, v7, vcc
	v_mov_b32_e32 v0, s11
	v_add_co_u32_e32 v8, vcc, s10, v8
	v_addc_co_u32_e32 v9, vcc, v0, v9, vcc
	s_waitcnt vmcnt(0)
	global_store_dword v[8:9], v5, off
	global_store_dwordx2 v[6:7], v[1:2], off
.LBB19_5:
	s_or_b64 exec, exec, s[4:5]
	s_mov_b64 s[4:5], 0
.LBB19_6:
	s_andn2_b64 vcc, exec, s[4:5]
	s_cbranch_vccnz .LBB19_8
; %bb.7:
	v_mov_b32_e32 v4, 0
	v_lshlrev_b64 v[6:7], 2, v[3:4]
	v_mov_b32_e32 v0, s11
	v_add_co_u32_e32 v6, vcc, s10, v6
	v_lshlrev_b64 v[8:9], 3, v[3:4]
	v_addc_co_u32_e32 v7, vcc, v0, v7, vcc
	v_mov_b32_e32 v0, s15
	v_add_co_u32_e32 v8, vcc, s14, v8
	v_addc_co_u32_e32 v9, vcc, v0, v9, vcc
	s_waitcnt vmcnt(0)
	global_store_dword v[6:7], v5, off
	global_store_dwordx2 v[8:9], v[1:2], off
.LBB19_8:
	s_mov_b64 s[4:5], 0
.LBB19_9:
	s_andn2_b64 vcc, exec, s[4:5]
	s_cbranch_vccnz .LBB19_24
; %bb.10:
	s_min_u32 s7, s6, s18
	s_add_i32 s4, s7, s19
	s_min_u32 s12, s4, s18
	s_min_u32 s4, s13, s7
	s_add_i32 s13, s13, s7
	v_subrev_u32_e32 v0, s13, v3
	v_add_u32_e32 v0, s4, v0
	s_andn2_b64 vcc, exec, s[16:17]
	s_mov_b64 s[4:5], -1
	s_cbranch_vccnz .LBB19_18
; %bb.11:
	s_and_saveexec_b64 s[4:5], s[2:3]
	s_cbranch_execz .LBB19_17
; %bb.12:
	s_cmp_ge_u32 s6, s12
	v_mov_b32_e32 v6, s7
	s_cbranch_scc1 .LBB19_16
; %bb.13:
	s_mov_b64 s[2:3], 0
	v_mov_b32_e32 v7, s12
	v_mov_b32_e32 v6, s7
	;; [unrolled: 1-line block ×4, first 2 shown]
.LBB19_14:                              ; =>This Inner Loop Header: Depth=1
	v_add_u32_e32 v3, v6, v7
	v_lshrrev_b32_e32 v3, 1, v3
	v_lshlrev_b64 v[9:10], 2, v[3:4]
	v_add_co_u32_e32 v9, vcc, s8, v9
	v_addc_co_u32_e32 v10, vcc, v8, v10, vcc
	global_load_dword v9, v[9:10], off
	v_add_u32_e32 v10, 1, v3
	s_waitcnt vmcnt(0)
	v_cmp_gt_u32_e32 vcc, v5, v9
	v_cndmask_b32_e64 v11, 0, 1, vcc
	v_cmp_le_u32_e32 vcc, v9, v5
	v_cndmask_b32_e64 v9, 0, 1, vcc
	v_cndmask_b32_e64 v9, v9, v11, s[0:1]
	v_and_b32_e32 v9, 1, v9
	v_cmp_eq_u32_e32 vcc, 1, v9
	v_cndmask_b32_e32 v7, v3, v7, vcc
	v_cndmask_b32_e32 v6, v6, v10, vcc
	v_cmp_ge_u32_e32 vcc, v6, v7
	s_or_b64 s[2:3], vcc, s[2:3]
	s_andn2_b64 exec, exec, s[2:3]
	s_cbranch_execnz .LBB19_14
; %bb.15:
	s_or_b64 exec, exec, s[2:3]
.LBB19_16:
	v_add_u32_e32 v3, v6, v0
	v_mov_b32_e32 v4, 0
	v_lshlrev_b64 v[6:7], 2, v[3:4]
	v_mov_b32_e32 v8, s11
	v_add_co_u32_e32 v6, vcc, s10, v6
	v_lshlrev_b64 v[3:4], 3, v[3:4]
	v_addc_co_u32_e32 v7, vcc, v8, v7, vcc
	s_waitcnt vmcnt(0)
	global_store_dword v[6:7], v5, off
	v_mov_b32_e32 v6, s15
	v_add_co_u32_e32 v3, vcc, s14, v3
	v_addc_co_u32_e32 v4, vcc, v6, v4, vcc
	global_store_dwordx2 v[3:4], v[1:2], off
.LBB19_17:
	s_or_b64 exec, exec, s[4:5]
	s_mov_b64 s[4:5], 0
.LBB19_18:
	s_andn2_b64 vcc, exec, s[4:5]
	s_cbranch_vccnz .LBB19_24
; %bb.19:
	s_cmp_ge_u32 s6, s12
	v_mov_b32_e32 v6, s7
	s_cbranch_scc1 .LBB19_23
; %bb.20:
	s_mov_b64 s[2:3], 0
	v_mov_b32_e32 v7, s12
	v_mov_b32_e32 v6, s7
	;; [unrolled: 1-line block ×4, first 2 shown]
.LBB19_21:                              ; =>This Inner Loop Header: Depth=1
	v_add_u32_e32 v3, v6, v7
	v_lshrrev_b32_e32 v3, 1, v3
	v_lshlrev_b64 v[9:10], 2, v[3:4]
	v_add_co_u32_e32 v9, vcc, s8, v9
	v_addc_co_u32_e32 v10, vcc, v8, v10, vcc
	global_load_dword v9, v[9:10], off
	v_add_u32_e32 v10, 1, v3
	s_waitcnt vmcnt(0)
	v_cmp_gt_u32_e32 vcc, v5, v9
	v_cndmask_b32_e64 v11, 0, 1, vcc
	v_cmp_le_u32_e32 vcc, v9, v5
	v_cndmask_b32_e64 v9, 0, 1, vcc
	v_cndmask_b32_e64 v9, v9, v11, s[0:1]
	v_and_b32_e32 v9, 1, v9
	v_cmp_eq_u32_e32 vcc, 1, v9
	v_cndmask_b32_e32 v7, v3, v7, vcc
	v_cndmask_b32_e32 v6, v6, v10, vcc
	v_cmp_ge_u32_e32 vcc, v6, v7
	s_or_b64 s[2:3], vcc, s[2:3]
	s_andn2_b64 exec, exec, s[2:3]
	s_cbranch_execnz .LBB19_21
; %bb.22:
	s_or_b64 exec, exec, s[2:3]
.LBB19_23:
	v_add_u32_e32 v3, v6, v0
	v_mov_b32_e32 v4, 0
	v_lshlrev_b64 v[6:7], 2, v[3:4]
	v_mov_b32_e32 v0, s11
	v_add_co_u32_e32 v6, vcc, s10, v6
	v_lshlrev_b64 v[3:4], 3, v[3:4]
	v_addc_co_u32_e32 v7, vcc, v0, v7, vcc
	v_mov_b32_e32 v0, s15
	v_add_co_u32_e32 v3, vcc, s14, v3
	v_addc_co_u32_e32 v4, vcc, v0, v4, vcc
	s_waitcnt vmcnt(0)
	global_store_dword v[6:7], v5, off
	global_store_dwordx2 v[3:4], v[1:2], off
.LBB19_24:
	s_endpgm
	.section	.rodata,"a",@progbits
	.p2align	6, 0x0
	.amdhsa_kernel _ZN7rocprim17ROCPRIM_304000_NS6detail33device_block_merge_oddeven_kernelINS1_37wrapped_merge_sort_block_merge_configINS0_14default_configEjN2at4cuda3cub6detail10OpaqueTypeILi8EEEEEPjSC_PSA_SD_jNS1_19radix_merge_compareILb0ELb0EjNS0_19identity_decomposerEEEEEvT0_T1_T2_T3_T4_SL_T5_
		.amdhsa_group_segment_fixed_size 0
		.amdhsa_private_segment_fixed_size 0
		.amdhsa_kernarg_size 44
		.amdhsa_user_sgpr_count 6
		.amdhsa_user_sgpr_private_segment_buffer 1
		.amdhsa_user_sgpr_dispatch_ptr 0
		.amdhsa_user_sgpr_queue_ptr 0
		.amdhsa_user_sgpr_kernarg_segment_ptr 1
		.amdhsa_user_sgpr_dispatch_id 0
		.amdhsa_user_sgpr_flat_scratch_init 0
		.amdhsa_user_sgpr_private_segment_size 0
		.amdhsa_uses_dynamic_stack 0
		.amdhsa_system_sgpr_private_segment_wavefront_offset 0
		.amdhsa_system_sgpr_workgroup_id_x 1
		.amdhsa_system_sgpr_workgroup_id_y 0
		.amdhsa_system_sgpr_workgroup_id_z 0
		.amdhsa_system_sgpr_workgroup_info 0
		.amdhsa_system_vgpr_workitem_id 0
		.amdhsa_next_free_vgpr 12
		.amdhsa_next_free_sgpr 22
		.amdhsa_reserve_vcc 1
		.amdhsa_reserve_flat_scratch 0
		.amdhsa_float_round_mode_32 0
		.amdhsa_float_round_mode_16_64 0
		.amdhsa_float_denorm_mode_32 3
		.amdhsa_float_denorm_mode_16_64 3
		.amdhsa_dx10_clamp 1
		.amdhsa_ieee_mode 1
		.amdhsa_fp16_overflow 0
		.amdhsa_exception_fp_ieee_invalid_op 0
		.amdhsa_exception_fp_denorm_src 0
		.amdhsa_exception_fp_ieee_div_zero 0
		.amdhsa_exception_fp_ieee_overflow 0
		.amdhsa_exception_fp_ieee_underflow 0
		.amdhsa_exception_fp_ieee_inexact 0
		.amdhsa_exception_int_div_zero 0
	.end_amdhsa_kernel
	.section	.text._ZN7rocprim17ROCPRIM_304000_NS6detail33device_block_merge_oddeven_kernelINS1_37wrapped_merge_sort_block_merge_configINS0_14default_configEjN2at4cuda3cub6detail10OpaqueTypeILi8EEEEEPjSC_PSA_SD_jNS1_19radix_merge_compareILb0ELb0EjNS0_19identity_decomposerEEEEEvT0_T1_T2_T3_T4_SL_T5_,"axG",@progbits,_ZN7rocprim17ROCPRIM_304000_NS6detail33device_block_merge_oddeven_kernelINS1_37wrapped_merge_sort_block_merge_configINS0_14default_configEjN2at4cuda3cub6detail10OpaqueTypeILi8EEEEEPjSC_PSA_SD_jNS1_19radix_merge_compareILb0ELb0EjNS0_19identity_decomposerEEEEEvT0_T1_T2_T3_T4_SL_T5_,comdat
.Lfunc_end19:
	.size	_ZN7rocprim17ROCPRIM_304000_NS6detail33device_block_merge_oddeven_kernelINS1_37wrapped_merge_sort_block_merge_configINS0_14default_configEjN2at4cuda3cub6detail10OpaqueTypeILi8EEEEEPjSC_PSA_SD_jNS1_19radix_merge_compareILb0ELb0EjNS0_19identity_decomposerEEEEEvT0_T1_T2_T3_T4_SL_T5_, .Lfunc_end19-_ZN7rocprim17ROCPRIM_304000_NS6detail33device_block_merge_oddeven_kernelINS1_37wrapped_merge_sort_block_merge_configINS0_14default_configEjN2at4cuda3cub6detail10OpaqueTypeILi8EEEEEPjSC_PSA_SD_jNS1_19radix_merge_compareILb0ELb0EjNS0_19identity_decomposerEEEEEvT0_T1_T2_T3_T4_SL_T5_
                                        ; -- End function
	.set _ZN7rocprim17ROCPRIM_304000_NS6detail33device_block_merge_oddeven_kernelINS1_37wrapped_merge_sort_block_merge_configINS0_14default_configEjN2at4cuda3cub6detail10OpaqueTypeILi8EEEEEPjSC_PSA_SD_jNS1_19radix_merge_compareILb0ELb0EjNS0_19identity_decomposerEEEEEvT0_T1_T2_T3_T4_SL_T5_.num_vgpr, 12
	.set _ZN7rocprim17ROCPRIM_304000_NS6detail33device_block_merge_oddeven_kernelINS1_37wrapped_merge_sort_block_merge_configINS0_14default_configEjN2at4cuda3cub6detail10OpaqueTypeILi8EEEEEPjSC_PSA_SD_jNS1_19radix_merge_compareILb0ELb0EjNS0_19identity_decomposerEEEEEvT0_T1_T2_T3_T4_SL_T5_.num_agpr, 0
	.set _ZN7rocprim17ROCPRIM_304000_NS6detail33device_block_merge_oddeven_kernelINS1_37wrapped_merge_sort_block_merge_configINS0_14default_configEjN2at4cuda3cub6detail10OpaqueTypeILi8EEEEEPjSC_PSA_SD_jNS1_19radix_merge_compareILb0ELb0EjNS0_19identity_decomposerEEEEEvT0_T1_T2_T3_T4_SL_T5_.numbered_sgpr, 22
	.set _ZN7rocprim17ROCPRIM_304000_NS6detail33device_block_merge_oddeven_kernelINS1_37wrapped_merge_sort_block_merge_configINS0_14default_configEjN2at4cuda3cub6detail10OpaqueTypeILi8EEEEEPjSC_PSA_SD_jNS1_19radix_merge_compareILb0ELb0EjNS0_19identity_decomposerEEEEEvT0_T1_T2_T3_T4_SL_T5_.num_named_barrier, 0
	.set _ZN7rocprim17ROCPRIM_304000_NS6detail33device_block_merge_oddeven_kernelINS1_37wrapped_merge_sort_block_merge_configINS0_14default_configEjN2at4cuda3cub6detail10OpaqueTypeILi8EEEEEPjSC_PSA_SD_jNS1_19radix_merge_compareILb0ELb0EjNS0_19identity_decomposerEEEEEvT0_T1_T2_T3_T4_SL_T5_.private_seg_size, 0
	.set _ZN7rocprim17ROCPRIM_304000_NS6detail33device_block_merge_oddeven_kernelINS1_37wrapped_merge_sort_block_merge_configINS0_14default_configEjN2at4cuda3cub6detail10OpaqueTypeILi8EEEEEPjSC_PSA_SD_jNS1_19radix_merge_compareILb0ELb0EjNS0_19identity_decomposerEEEEEvT0_T1_T2_T3_T4_SL_T5_.uses_vcc, 1
	.set _ZN7rocprim17ROCPRIM_304000_NS6detail33device_block_merge_oddeven_kernelINS1_37wrapped_merge_sort_block_merge_configINS0_14default_configEjN2at4cuda3cub6detail10OpaqueTypeILi8EEEEEPjSC_PSA_SD_jNS1_19radix_merge_compareILb0ELb0EjNS0_19identity_decomposerEEEEEvT0_T1_T2_T3_T4_SL_T5_.uses_flat_scratch, 0
	.set _ZN7rocprim17ROCPRIM_304000_NS6detail33device_block_merge_oddeven_kernelINS1_37wrapped_merge_sort_block_merge_configINS0_14default_configEjN2at4cuda3cub6detail10OpaqueTypeILi8EEEEEPjSC_PSA_SD_jNS1_19radix_merge_compareILb0ELb0EjNS0_19identity_decomposerEEEEEvT0_T1_T2_T3_T4_SL_T5_.has_dyn_sized_stack, 0
	.set _ZN7rocprim17ROCPRIM_304000_NS6detail33device_block_merge_oddeven_kernelINS1_37wrapped_merge_sort_block_merge_configINS0_14default_configEjN2at4cuda3cub6detail10OpaqueTypeILi8EEEEEPjSC_PSA_SD_jNS1_19radix_merge_compareILb0ELb0EjNS0_19identity_decomposerEEEEEvT0_T1_T2_T3_T4_SL_T5_.has_recursion, 0
	.set _ZN7rocprim17ROCPRIM_304000_NS6detail33device_block_merge_oddeven_kernelINS1_37wrapped_merge_sort_block_merge_configINS0_14default_configEjN2at4cuda3cub6detail10OpaqueTypeILi8EEEEEPjSC_PSA_SD_jNS1_19radix_merge_compareILb0ELb0EjNS0_19identity_decomposerEEEEEvT0_T1_T2_T3_T4_SL_T5_.has_indirect_call, 0
	.section	.AMDGPU.csdata,"",@progbits
; Kernel info:
; codeLenInByte = 844
; TotalNumSgprs: 26
; NumVgprs: 12
; ScratchSize: 0
; MemoryBound: 0
; FloatMode: 240
; IeeeMode: 1
; LDSByteSize: 0 bytes/workgroup (compile time only)
; SGPRBlocks: 3
; VGPRBlocks: 2
; NumSGPRsForWavesPerEU: 26
; NumVGPRsForWavesPerEU: 12
; Occupancy: 10
; WaveLimiterHint : 0
; COMPUTE_PGM_RSRC2:SCRATCH_EN: 0
; COMPUTE_PGM_RSRC2:USER_SGPR: 6
; COMPUTE_PGM_RSRC2:TRAP_HANDLER: 0
; COMPUTE_PGM_RSRC2:TGID_X_EN: 1
; COMPUTE_PGM_RSRC2:TGID_Y_EN: 0
; COMPUTE_PGM_RSRC2:TGID_Z_EN: 0
; COMPUTE_PGM_RSRC2:TIDIG_COMP_CNT: 0
	.section	.text._ZN7rocprim17ROCPRIM_304000_NS6detail45device_block_merge_mergepath_partition_kernelINS1_37wrapped_merge_sort_block_merge_configINS0_14default_configEjN2at4cuda3cub6detail10OpaqueTypeILi8EEEEEPjjNS1_19radix_merge_compareILb0ELb1EjNS0_19identity_decomposerEEEEEvT0_T1_jPSH_T2_SH_,"axG",@progbits,_ZN7rocprim17ROCPRIM_304000_NS6detail45device_block_merge_mergepath_partition_kernelINS1_37wrapped_merge_sort_block_merge_configINS0_14default_configEjN2at4cuda3cub6detail10OpaqueTypeILi8EEEEEPjjNS1_19radix_merge_compareILb0ELb1EjNS0_19identity_decomposerEEEEEvT0_T1_jPSH_T2_SH_,comdat
	.protected	_ZN7rocprim17ROCPRIM_304000_NS6detail45device_block_merge_mergepath_partition_kernelINS1_37wrapped_merge_sort_block_merge_configINS0_14default_configEjN2at4cuda3cub6detail10OpaqueTypeILi8EEEEEPjjNS1_19radix_merge_compareILb0ELb1EjNS0_19identity_decomposerEEEEEvT0_T1_jPSH_T2_SH_ ; -- Begin function _ZN7rocprim17ROCPRIM_304000_NS6detail45device_block_merge_mergepath_partition_kernelINS1_37wrapped_merge_sort_block_merge_configINS0_14default_configEjN2at4cuda3cub6detail10OpaqueTypeILi8EEEEEPjjNS1_19radix_merge_compareILb0ELb1EjNS0_19identity_decomposerEEEEEvT0_T1_jPSH_T2_SH_
	.globl	_ZN7rocprim17ROCPRIM_304000_NS6detail45device_block_merge_mergepath_partition_kernelINS1_37wrapped_merge_sort_block_merge_configINS0_14default_configEjN2at4cuda3cub6detail10OpaqueTypeILi8EEEEEPjjNS1_19radix_merge_compareILb0ELb1EjNS0_19identity_decomposerEEEEEvT0_T1_jPSH_T2_SH_
	.p2align	8
	.type	_ZN7rocprim17ROCPRIM_304000_NS6detail45device_block_merge_mergepath_partition_kernelINS1_37wrapped_merge_sort_block_merge_configINS0_14default_configEjN2at4cuda3cub6detail10OpaqueTypeILi8EEEEEPjjNS1_19radix_merge_compareILb0ELb1EjNS0_19identity_decomposerEEEEEvT0_T1_jPSH_T2_SH_,@function
_ZN7rocprim17ROCPRIM_304000_NS6detail45device_block_merge_mergepath_partition_kernelINS1_37wrapped_merge_sort_block_merge_configINS0_14default_configEjN2at4cuda3cub6detail10OpaqueTypeILi8EEEEEPjjNS1_19radix_merge_compareILb0ELb1EjNS0_19identity_decomposerEEEEEvT0_T1_jPSH_T2_SH_: ; @_ZN7rocprim17ROCPRIM_304000_NS6detail45device_block_merge_mergepath_partition_kernelINS1_37wrapped_merge_sort_block_merge_configINS0_14default_configEjN2at4cuda3cub6detail10OpaqueTypeILi8EEEEEPjjNS1_19radix_merge_compareILb0ELb1EjNS0_19identity_decomposerEEEEEvT0_T1_jPSH_T2_SH_
; %bb.0:
	s_load_dwordx2 s[2:3], s[4:5], 0x8
	v_lshl_or_b32 v0, s6, 7, v0
	s_waitcnt lgkmcnt(0)
	v_cmp_gt_u32_e32 vcc, s3, v0
	s_and_saveexec_b64 s[0:1], vcc
	s_cbranch_execz .LBB20_6
; %bb.1:
	s_load_dwordx2 s[0:1], s[4:5], 0x18
	s_waitcnt lgkmcnt(0)
	s_lshr_b32 s3, s1, 8
	s_and_b32 s3, s3, 0xfffffe
	s_add_i32 s6, s3, -1
	s_sub_i32 s3, 0, s3
	v_and_b32_e32 v1, s3, v0
	v_lshlrev_b32_e32 v3, 9, v1
	v_min_u32_e32 v1, s2, v3
	v_add_u32_e32 v3, s1, v3
	v_min_u32_e32 v3, s2, v3
	v_add_u32_e32 v4, s1, v3
	v_and_b32_e32 v2, s6, v0
	v_min_u32_e32 v4, s2, v4
	v_lshlrev_b32_e32 v2, 9, v2
	v_sub_u32_e32 v5, v4, v1
	v_min_u32_e32 v6, v5, v2
	v_sub_u32_e32 v2, v3, v1
	v_sub_u32_e32 v4, v4, v3
	v_sub_u32_e64 v5, v6, v4 clamp
	v_min_u32_e32 v7, v6, v2
	v_cmp_lt_u32_e32 vcc, v5, v7
	s_and_saveexec_b64 s[2:3], vcc
	s_cbranch_execz .LBB20_5
; %bb.2:
	s_load_dwordx2 s[6:7], s[4:5], 0x0
	v_mov_b32_e32 v4, 0
	v_mov_b32_e32 v2, v4
	v_lshlrev_b64 v[8:9], 2, v[1:2]
	s_waitcnt lgkmcnt(0)
	v_mov_b32_e32 v11, s7
	v_add_co_u32_e32 v2, vcc, s6, v8
	v_addc_co_u32_e32 v8, vcc, v11, v9, vcc
	v_lshlrev_b64 v[9:10], 2, v[3:4]
	v_add_co_u32_e32 v9, vcc, s6, v9
	v_addc_co_u32_e32 v10, vcc, v11, v10, vcc
	s_mov_b64 s[6:7], 0
.LBB20_3:                               ; =>This Inner Loop Header: Depth=1
	v_add_u32_e32 v3, v7, v5
	v_lshrrev_b32_e32 v3, 1, v3
	v_lshlrev_b64 v[13:14], 2, v[3:4]
	v_mov_b32_e32 v12, v4
	v_xad_u32 v11, v3, -1, v6
	v_lshlrev_b64 v[11:12], 2, v[11:12]
	v_add_co_u32_e32 v13, vcc, v2, v13
	v_addc_co_u32_e32 v14, vcc, v8, v14, vcc
	v_add_co_u32_e32 v11, vcc, v9, v11
	v_addc_co_u32_e32 v12, vcc, v10, v12, vcc
	global_load_dword v15, v[13:14], off
	global_load_dword v16, v[11:12], off
	v_add_u32_e32 v11, 1, v3
	s_waitcnt vmcnt(1)
	v_and_b32_e32 v12, s0, v15
	s_waitcnt vmcnt(0)
	v_and_b32_e32 v13, s0, v16
	v_cmp_gt_u32_e32 vcc, v12, v13
	v_cndmask_b32_e32 v7, v7, v3, vcc
	v_cndmask_b32_e32 v5, v11, v5, vcc
	v_cmp_ge_u32_e32 vcc, v5, v7
	s_or_b64 s[6:7], vcc, s[6:7]
	s_andn2_b64 exec, exec, s[6:7]
	s_cbranch_execnz .LBB20_3
; %bb.4:
	s_or_b64 exec, exec, s[6:7]
.LBB20_5:
	s_or_b64 exec, exec, s[2:3]
	s_load_dwordx2 s[0:1], s[4:5], 0x10
	v_add_u32_e32 v2, v5, v1
	v_mov_b32_e32 v1, 0
	v_lshlrev_b64 v[0:1], 2, v[0:1]
	s_waitcnt lgkmcnt(0)
	v_mov_b32_e32 v3, s1
	v_add_co_u32_e32 v0, vcc, s0, v0
	v_addc_co_u32_e32 v1, vcc, v3, v1, vcc
	global_store_dword v[0:1], v2, off
.LBB20_6:
	s_endpgm
	.section	.rodata,"a",@progbits
	.p2align	6, 0x0
	.amdhsa_kernel _ZN7rocprim17ROCPRIM_304000_NS6detail45device_block_merge_mergepath_partition_kernelINS1_37wrapped_merge_sort_block_merge_configINS0_14default_configEjN2at4cuda3cub6detail10OpaqueTypeILi8EEEEEPjjNS1_19radix_merge_compareILb0ELb1EjNS0_19identity_decomposerEEEEEvT0_T1_jPSH_T2_SH_
		.amdhsa_group_segment_fixed_size 0
		.amdhsa_private_segment_fixed_size 0
		.amdhsa_kernarg_size 32
		.amdhsa_user_sgpr_count 6
		.amdhsa_user_sgpr_private_segment_buffer 1
		.amdhsa_user_sgpr_dispatch_ptr 0
		.amdhsa_user_sgpr_queue_ptr 0
		.amdhsa_user_sgpr_kernarg_segment_ptr 1
		.amdhsa_user_sgpr_dispatch_id 0
		.amdhsa_user_sgpr_flat_scratch_init 0
		.amdhsa_user_sgpr_private_segment_size 0
		.amdhsa_uses_dynamic_stack 0
		.amdhsa_system_sgpr_private_segment_wavefront_offset 0
		.amdhsa_system_sgpr_workgroup_id_x 1
		.amdhsa_system_sgpr_workgroup_id_y 0
		.amdhsa_system_sgpr_workgroup_id_z 0
		.amdhsa_system_sgpr_workgroup_info 0
		.amdhsa_system_vgpr_workitem_id 0
		.amdhsa_next_free_vgpr 17
		.amdhsa_next_free_sgpr 8
		.amdhsa_reserve_vcc 1
		.amdhsa_reserve_flat_scratch 0
		.amdhsa_float_round_mode_32 0
		.amdhsa_float_round_mode_16_64 0
		.amdhsa_float_denorm_mode_32 3
		.amdhsa_float_denorm_mode_16_64 3
		.amdhsa_dx10_clamp 1
		.amdhsa_ieee_mode 1
		.amdhsa_fp16_overflow 0
		.amdhsa_exception_fp_ieee_invalid_op 0
		.amdhsa_exception_fp_denorm_src 0
		.amdhsa_exception_fp_ieee_div_zero 0
		.amdhsa_exception_fp_ieee_overflow 0
		.amdhsa_exception_fp_ieee_underflow 0
		.amdhsa_exception_fp_ieee_inexact 0
		.amdhsa_exception_int_div_zero 0
	.end_amdhsa_kernel
	.section	.text._ZN7rocprim17ROCPRIM_304000_NS6detail45device_block_merge_mergepath_partition_kernelINS1_37wrapped_merge_sort_block_merge_configINS0_14default_configEjN2at4cuda3cub6detail10OpaqueTypeILi8EEEEEPjjNS1_19radix_merge_compareILb0ELb1EjNS0_19identity_decomposerEEEEEvT0_T1_jPSH_T2_SH_,"axG",@progbits,_ZN7rocprim17ROCPRIM_304000_NS6detail45device_block_merge_mergepath_partition_kernelINS1_37wrapped_merge_sort_block_merge_configINS0_14default_configEjN2at4cuda3cub6detail10OpaqueTypeILi8EEEEEPjjNS1_19radix_merge_compareILb0ELb1EjNS0_19identity_decomposerEEEEEvT0_T1_jPSH_T2_SH_,comdat
.Lfunc_end20:
	.size	_ZN7rocprim17ROCPRIM_304000_NS6detail45device_block_merge_mergepath_partition_kernelINS1_37wrapped_merge_sort_block_merge_configINS0_14default_configEjN2at4cuda3cub6detail10OpaqueTypeILi8EEEEEPjjNS1_19radix_merge_compareILb0ELb1EjNS0_19identity_decomposerEEEEEvT0_T1_jPSH_T2_SH_, .Lfunc_end20-_ZN7rocprim17ROCPRIM_304000_NS6detail45device_block_merge_mergepath_partition_kernelINS1_37wrapped_merge_sort_block_merge_configINS0_14default_configEjN2at4cuda3cub6detail10OpaqueTypeILi8EEEEEPjjNS1_19radix_merge_compareILb0ELb1EjNS0_19identity_decomposerEEEEEvT0_T1_jPSH_T2_SH_
                                        ; -- End function
	.set _ZN7rocprim17ROCPRIM_304000_NS6detail45device_block_merge_mergepath_partition_kernelINS1_37wrapped_merge_sort_block_merge_configINS0_14default_configEjN2at4cuda3cub6detail10OpaqueTypeILi8EEEEEPjjNS1_19radix_merge_compareILb0ELb1EjNS0_19identity_decomposerEEEEEvT0_T1_jPSH_T2_SH_.num_vgpr, 17
	.set _ZN7rocprim17ROCPRIM_304000_NS6detail45device_block_merge_mergepath_partition_kernelINS1_37wrapped_merge_sort_block_merge_configINS0_14default_configEjN2at4cuda3cub6detail10OpaqueTypeILi8EEEEEPjjNS1_19radix_merge_compareILb0ELb1EjNS0_19identity_decomposerEEEEEvT0_T1_jPSH_T2_SH_.num_agpr, 0
	.set _ZN7rocprim17ROCPRIM_304000_NS6detail45device_block_merge_mergepath_partition_kernelINS1_37wrapped_merge_sort_block_merge_configINS0_14default_configEjN2at4cuda3cub6detail10OpaqueTypeILi8EEEEEPjjNS1_19radix_merge_compareILb0ELb1EjNS0_19identity_decomposerEEEEEvT0_T1_jPSH_T2_SH_.numbered_sgpr, 8
	.set _ZN7rocprim17ROCPRIM_304000_NS6detail45device_block_merge_mergepath_partition_kernelINS1_37wrapped_merge_sort_block_merge_configINS0_14default_configEjN2at4cuda3cub6detail10OpaqueTypeILi8EEEEEPjjNS1_19radix_merge_compareILb0ELb1EjNS0_19identity_decomposerEEEEEvT0_T1_jPSH_T2_SH_.num_named_barrier, 0
	.set _ZN7rocprim17ROCPRIM_304000_NS6detail45device_block_merge_mergepath_partition_kernelINS1_37wrapped_merge_sort_block_merge_configINS0_14default_configEjN2at4cuda3cub6detail10OpaqueTypeILi8EEEEEPjjNS1_19radix_merge_compareILb0ELb1EjNS0_19identity_decomposerEEEEEvT0_T1_jPSH_T2_SH_.private_seg_size, 0
	.set _ZN7rocprim17ROCPRIM_304000_NS6detail45device_block_merge_mergepath_partition_kernelINS1_37wrapped_merge_sort_block_merge_configINS0_14default_configEjN2at4cuda3cub6detail10OpaqueTypeILi8EEEEEPjjNS1_19radix_merge_compareILb0ELb1EjNS0_19identity_decomposerEEEEEvT0_T1_jPSH_T2_SH_.uses_vcc, 1
	.set _ZN7rocprim17ROCPRIM_304000_NS6detail45device_block_merge_mergepath_partition_kernelINS1_37wrapped_merge_sort_block_merge_configINS0_14default_configEjN2at4cuda3cub6detail10OpaqueTypeILi8EEEEEPjjNS1_19radix_merge_compareILb0ELb1EjNS0_19identity_decomposerEEEEEvT0_T1_jPSH_T2_SH_.uses_flat_scratch, 0
	.set _ZN7rocprim17ROCPRIM_304000_NS6detail45device_block_merge_mergepath_partition_kernelINS1_37wrapped_merge_sort_block_merge_configINS0_14default_configEjN2at4cuda3cub6detail10OpaqueTypeILi8EEEEEPjjNS1_19radix_merge_compareILb0ELb1EjNS0_19identity_decomposerEEEEEvT0_T1_jPSH_T2_SH_.has_dyn_sized_stack, 0
	.set _ZN7rocprim17ROCPRIM_304000_NS6detail45device_block_merge_mergepath_partition_kernelINS1_37wrapped_merge_sort_block_merge_configINS0_14default_configEjN2at4cuda3cub6detail10OpaqueTypeILi8EEEEEPjjNS1_19radix_merge_compareILb0ELb1EjNS0_19identity_decomposerEEEEEvT0_T1_jPSH_T2_SH_.has_recursion, 0
	.set _ZN7rocprim17ROCPRIM_304000_NS6detail45device_block_merge_mergepath_partition_kernelINS1_37wrapped_merge_sort_block_merge_configINS0_14default_configEjN2at4cuda3cub6detail10OpaqueTypeILi8EEEEEPjjNS1_19radix_merge_compareILb0ELb1EjNS0_19identity_decomposerEEEEEvT0_T1_jPSH_T2_SH_.has_indirect_call, 0
	.section	.AMDGPU.csdata,"",@progbits
; Kernel info:
; codeLenInByte = 376
; TotalNumSgprs: 12
; NumVgprs: 17
; ScratchSize: 0
; MemoryBound: 0
; FloatMode: 240
; IeeeMode: 1
; LDSByteSize: 0 bytes/workgroup (compile time only)
; SGPRBlocks: 1
; VGPRBlocks: 4
; NumSGPRsForWavesPerEU: 12
; NumVGPRsForWavesPerEU: 17
; Occupancy: 10
; WaveLimiterHint : 0
; COMPUTE_PGM_RSRC2:SCRATCH_EN: 0
; COMPUTE_PGM_RSRC2:USER_SGPR: 6
; COMPUTE_PGM_RSRC2:TRAP_HANDLER: 0
; COMPUTE_PGM_RSRC2:TGID_X_EN: 1
; COMPUTE_PGM_RSRC2:TGID_Y_EN: 0
; COMPUTE_PGM_RSRC2:TGID_Z_EN: 0
; COMPUTE_PGM_RSRC2:TIDIG_COMP_CNT: 0
	.section	.text._ZN7rocprim17ROCPRIM_304000_NS6detail35device_block_merge_mergepath_kernelINS1_37wrapped_merge_sort_block_merge_configINS0_14default_configEjN2at4cuda3cub6detail10OpaqueTypeILi8EEEEEPjSC_PSA_SD_jNS1_19radix_merge_compareILb0ELb1EjNS0_19identity_decomposerEEEEEvT0_T1_T2_T3_T4_SL_jT5_PKSL_NS1_7vsmem_tE,"axG",@progbits,_ZN7rocprim17ROCPRIM_304000_NS6detail35device_block_merge_mergepath_kernelINS1_37wrapped_merge_sort_block_merge_configINS0_14default_configEjN2at4cuda3cub6detail10OpaqueTypeILi8EEEEEPjSC_PSA_SD_jNS1_19radix_merge_compareILb0ELb1EjNS0_19identity_decomposerEEEEEvT0_T1_T2_T3_T4_SL_jT5_PKSL_NS1_7vsmem_tE,comdat
	.protected	_ZN7rocprim17ROCPRIM_304000_NS6detail35device_block_merge_mergepath_kernelINS1_37wrapped_merge_sort_block_merge_configINS0_14default_configEjN2at4cuda3cub6detail10OpaqueTypeILi8EEEEEPjSC_PSA_SD_jNS1_19radix_merge_compareILb0ELb1EjNS0_19identity_decomposerEEEEEvT0_T1_T2_T3_T4_SL_jT5_PKSL_NS1_7vsmem_tE ; -- Begin function _ZN7rocprim17ROCPRIM_304000_NS6detail35device_block_merge_mergepath_kernelINS1_37wrapped_merge_sort_block_merge_configINS0_14default_configEjN2at4cuda3cub6detail10OpaqueTypeILi8EEEEEPjSC_PSA_SD_jNS1_19radix_merge_compareILb0ELb1EjNS0_19identity_decomposerEEEEEvT0_T1_T2_T3_T4_SL_jT5_PKSL_NS1_7vsmem_tE
	.globl	_ZN7rocprim17ROCPRIM_304000_NS6detail35device_block_merge_mergepath_kernelINS1_37wrapped_merge_sort_block_merge_configINS0_14default_configEjN2at4cuda3cub6detail10OpaqueTypeILi8EEEEEPjSC_PSA_SD_jNS1_19radix_merge_compareILb0ELb1EjNS0_19identity_decomposerEEEEEvT0_T1_T2_T3_T4_SL_jT5_PKSL_NS1_7vsmem_tE
	.p2align	8
	.type	_ZN7rocprim17ROCPRIM_304000_NS6detail35device_block_merge_mergepath_kernelINS1_37wrapped_merge_sort_block_merge_configINS0_14default_configEjN2at4cuda3cub6detail10OpaqueTypeILi8EEEEEPjSC_PSA_SD_jNS1_19radix_merge_compareILb0ELb1EjNS0_19identity_decomposerEEEEEvT0_T1_T2_T3_T4_SL_jT5_PKSL_NS1_7vsmem_tE,@function
_ZN7rocprim17ROCPRIM_304000_NS6detail35device_block_merge_mergepath_kernelINS1_37wrapped_merge_sort_block_merge_configINS0_14default_configEjN2at4cuda3cub6detail10OpaqueTypeILi8EEEEEPjSC_PSA_SD_jNS1_19radix_merge_compareILb0ELb1EjNS0_19identity_decomposerEEEEEvT0_T1_T2_T3_T4_SL_jT5_PKSL_NS1_7vsmem_tE: ; @_ZN7rocprim17ROCPRIM_304000_NS6detail35device_block_merge_mergepath_kernelINS1_37wrapped_merge_sort_block_merge_configINS0_14default_configEjN2at4cuda3cub6detail10OpaqueTypeILi8EEEEEPjSC_PSA_SD_jNS1_19radix_merge_compareILb0ELb1EjNS0_19identity_decomposerEEEEEvT0_T1_T2_T3_T4_SL_jT5_PKSL_NS1_7vsmem_tE
; %bb.0:
	s_load_dwordx2 s[26:27], s[4:5], 0x40
	s_load_dwordx4 s[16:19], s[4:5], 0x20
	s_add_u32 s2, s4, 64
	s_addc_u32 s3, s5, 0
	s_waitcnt lgkmcnt(0)
	s_mul_i32 s0, s27, s8
	s_add_i32 s0, s0, s7
	s_mul_i32 s0, s0, s26
	s_add_i32 s0, s0, s6
	s_cmp_ge_u32 s0, s18
	s_cbranch_scc1 .LBB21_69
; %bb.1:
	s_load_dwordx8 s[8:15], s[4:5], 0x0
	s_load_dwordx2 s[22:23], s[4:5], 0x30
	s_lshr_b32 s27, s16, 9
	s_cmp_lg_u32 s0, s27
	s_mov_b32 s1, 0
	s_cselect_b64 s[20:21], -1, 0
	s_lshl_b64 s[4:5], s[0:1], 2
	s_waitcnt lgkmcnt(0)
	s_add_u32 s4, s22, s4
	s_addc_u32 s5, s23, s5
	s_load_dwordx2 s[22:23], s[4:5], 0x0
	s_lshr_b32 s4, s17, 8
	s_and_b32 s4, s4, 0xfffffe
	s_sub_i32 s4, 0, s4
	s_and_b32 s5, s0, s4
	s_lshl_b32 s7, s5, 9
	s_lshl_b32 s18, s0, 9
	;; [unrolled: 1-line block ×3, first 2 shown]
	s_sub_i32 s24, s18, s7
	s_add_i32 s5, s5, s17
	s_add_i32 s25, s5, s24
	s_waitcnt lgkmcnt(0)
	s_sub_i32 s24, s25, s22
	s_sub_i32 s25, s25, s23
	s_sub_i32 s5, s5, s7
	s_min_u32 s24, s16, s24
	s_addk_i32 s25, 0x200
	s_or_b32 s4, s0, s4
	s_min_u32 s7, s16, s5
	s_add_i32 s5, s5, s17
	s_cmp_eq_u32 s4, -1
	s_cselect_b32 s4, s5, s25
	s_cselect_b32 s5, s7, s23
	s_min_u32 s4, s4, s16
	s_mov_b32 s23, s1
	s_sub_i32 s28, s5, s22
	s_sub_i32 s29, s4, s24
	s_lshl_b64 s[30:31], s[22:23], 2
	s_add_u32 s5, s8, s30
	s_mov_b32 s25, s1
	s_addc_u32 s7, s9, s31
	s_lshl_b64 s[30:31], s[24:25], 2
	s_add_u32 s4, s8, s30
	v_mov_b32_e32 v6, 0
	global_load_dword v1, v6, s[2:3] offset:14
	s_addc_u32 s8, s9, s31
	s_cmp_lt_u32 s6, s26
	s_cselect_b32 s1, 12, 18
	s_add_u32 s2, s2, s1
	s_addc_u32 s3, s3, 0
	global_load_ushort v2, v6, s[2:3]
	s_cmp_eq_u32 s0, s27
	v_cmp_gt_u32_e32 vcc, s28, v0
	v_lshlrev_b32_e32 v9, 2, v0
	s_waitcnt vmcnt(1)
	v_lshrrev_b32_e32 v3, 16, v1
	v_and_b32_e32 v1, 0xffff, v1
	v_mul_lo_u32 v1, v1, v3
	s_waitcnt vmcnt(0)
	v_mul_lo_u32 v7, v1, v2
	v_add_u32_e32 v5, v7, v0
	s_cbranch_scc1 .LBB21_3
; %bb.2:
	v_mov_b32_e32 v1, s7
	v_add_co_u32_e64 v3, s[0:1], s5, v9
	v_subrev_u32_e32 v2, s28, v0
	v_addc_co_u32_e64 v1, s[0:1], 0, v1, s[0:1]
	v_lshlrev_b32_e32 v2, 2, v2
	v_mov_b32_e32 v4, s8
	v_add_co_u32_e64 v8, s[0:1], s4, v2
	v_addc_co_u32_e64 v2, s[0:1], 0, v4, s[0:1]
	v_cndmask_b32_e32 v2, v2, v1, vcc
	v_cndmask_b32_e32 v1, v8, v3, vcc
	global_load_dword v1, v[1:2], off
	v_lshlrev_b64 v[2:3], 2, v[5:6]
	v_mov_b32_e32 v4, s7
	v_add_co_u32_e32 v8, vcc, s5, v2
	v_addc_co_u32_e32 v4, vcc, v4, v3, vcc
	v_subrev_co_u32_e32 v2, vcc, s28, v5
	v_mov_b32_e32 v3, v6
	v_lshlrev_b64 v[2:3], 2, v[2:3]
	v_mov_b32_e32 v10, s8
	v_add_co_u32_e64 v2, s[0:1], s4, v2
	v_addc_co_u32_e64 v3, s[0:1], v10, v3, s[0:1]
	v_cndmask_b32_e32 v3, v3, v4, vcc
	v_cndmask_b32_e32 v2, v2, v8, vcc
	v_add_u32_e32 v10, v5, v7
	v_mov_b32_e32 v11, v6
	global_load_dword v2, v[2:3], off
	v_lshlrev_b64 v[3:4], 2, v[10:11]
	v_mov_b32_e32 v8, s7
	v_add_co_u32_e32 v11, vcc, s5, v3
	v_addc_co_u32_e32 v8, vcc, v8, v4, vcc
	v_subrev_co_u32_e32 v3, vcc, s28, v10
	v_mov_b32_e32 v4, v6
	v_lshlrev_b64 v[3:4], 2, v[3:4]
	v_mov_b32_e32 v12, s8
	v_add_co_u32_e64 v3, s[0:1], s4, v3
	v_cndmask_b32_e32 v3, v3, v11, vcc
	v_add_u32_e32 v10, v10, v7
	v_mov_b32_e32 v11, v6
	v_addc_co_u32_e64 v4, s[0:1], v12, v4, s[0:1]
	v_lshlrev_b64 v[11:12], 2, v[10:11]
	v_cndmask_b32_e32 v4, v4, v8, vcc
	global_load_dword v3, v[3:4], off
	v_mov_b32_e32 v4, s7
	v_add_co_u32_e32 v8, vcc, s5, v11
	v_addc_co_u32_e32 v4, vcc, v4, v12, vcc
	v_subrev_co_u32_e32 v10, vcc, s28, v10
	v_mov_b32_e32 v11, v6
	v_lshlrev_b64 v[10:11], 2, v[10:11]
	v_mov_b32_e32 v6, s8
	v_add_co_u32_e64 v10, s[0:1], s4, v10
	v_addc_co_u32_e64 v6, s[0:1], v6, v11, s[0:1]
	v_cndmask_b32_e32 v11, v6, v4, vcc
	v_cndmask_b32_e32 v10, v10, v8, vcc
	global_load_dword v4, v[10:11], off
	s_add_i32 s17, s29, s28
	s_cbranch_execz .LBB21_4
	s_branch .LBB21_13
.LBB21_3:
                                        ; implicit-def: $vgpr1_vgpr2_vgpr3_vgpr4
                                        ; implicit-def: $sgpr17
.LBB21_4:
	s_add_i32 s17, s29, s28
	s_waitcnt vmcnt(3)
	v_mov_b32_e32 v1, 0
	v_cmp_gt_u32_e32 vcc, s17, v0
	s_waitcnt vmcnt(2)
	v_mov_b32_e32 v2, v1
	s_waitcnt vmcnt(1)
	v_mov_b32_e32 v3, v1
	;; [unrolled: 2-line block ×3, first 2 shown]
	s_and_saveexec_b64 s[0:1], vcc
	s_cbranch_execz .LBB21_6
; %bb.5:
	v_mov_b32_e32 v2, s7
	v_add_co_u32_e32 v4, vcc, s5, v9
	v_subrev_u32_e32 v3, s28, v0
	v_addc_co_u32_e32 v2, vcc, 0, v2, vcc
	v_lshlrev_b32_e32 v3, 2, v3
	v_mov_b32_e32 v6, s8
	v_add_co_u32_e32 v8, vcc, s4, v3
	v_addc_co_u32_e32 v3, vcc, 0, v6, vcc
	v_cmp_gt_u32_e32 vcc, s28, v0
	v_cndmask_b32_e32 v3, v3, v2, vcc
	v_cndmask_b32_e32 v2, v8, v4, vcc
	global_load_dword v10, v[2:3], off
	v_mov_b32_e32 v11, v1
	v_mov_b32_e32 v12, v1
	;; [unrolled: 1-line block ×3, first 2 shown]
	s_waitcnt vmcnt(0)
	v_mov_b32_e32 v1, v10
	v_mov_b32_e32 v2, v11
	;; [unrolled: 1-line block ×4, first 2 shown]
.LBB21_6:
	s_or_b64 exec, exec, s[0:1]
	v_cmp_gt_u32_e32 vcc, s17, v5
	s_and_saveexec_b64 s[2:3], vcc
	s_cbranch_execz .LBB21_8
; %bb.7:
	v_mov_b32_e32 v6, 0
	v_lshlrev_b64 v[10:11], 2, v[5:6]
	v_mov_b32_e32 v2, s7
	v_add_co_u32_e32 v8, vcc, s5, v10
	v_addc_co_u32_e32 v2, vcc, v2, v11, vcc
	v_subrev_co_u32_e32 v10, vcc, s28, v5
	v_mov_b32_e32 v11, v6
	v_lshlrev_b64 v[10:11], 2, v[10:11]
	v_mov_b32_e32 v6, s8
	v_add_co_u32_e64 v10, s[0:1], s4, v10
	v_addc_co_u32_e64 v6, s[0:1], v6, v11, s[0:1]
	v_cndmask_b32_e32 v11, v6, v2, vcc
	v_cndmask_b32_e32 v10, v10, v8, vcc
	global_load_dword v2, v[10:11], off
.LBB21_8:
	s_or_b64 exec, exec, s[2:3]
	v_add_u32_e32 v5, v5, v7
	v_cmp_gt_u32_e32 vcc, s17, v5
	s_and_saveexec_b64 s[2:3], vcc
	s_cbranch_execz .LBB21_10
; %bb.9:
	v_mov_b32_e32 v6, 0
	v_lshlrev_b64 v[10:11], 2, v[5:6]
	v_mov_b32_e32 v3, s7
	v_add_co_u32_e32 v8, vcc, s5, v10
	v_addc_co_u32_e32 v3, vcc, v3, v11, vcc
	v_subrev_co_u32_e32 v10, vcc, s28, v5
	v_mov_b32_e32 v11, v6
	v_lshlrev_b64 v[10:11], 2, v[10:11]
	v_mov_b32_e32 v6, s8
	v_add_co_u32_e64 v10, s[0:1], s4, v10
	v_addc_co_u32_e64 v6, s[0:1], v6, v11, s[0:1]
	v_cndmask_b32_e32 v11, v6, v3, vcc
	v_cndmask_b32_e32 v10, v10, v8, vcc
	global_load_dword v3, v[10:11], off
.LBB21_10:
	s_or_b64 exec, exec, s[2:3]
	v_add_u32_e32 v5, v5, v7
	v_cmp_gt_u32_e32 vcc, s17, v5
	s_and_saveexec_b64 s[2:3], vcc
	s_cbranch_execz .LBB21_12
; %bb.11:
	v_mov_b32_e32 v6, 0
	v_lshlrev_b64 v[7:8], 2, v[5:6]
	v_mov_b32_e32 v4, s7
	v_add_co_u32_e32 v7, vcc, s5, v7
	v_addc_co_u32_e32 v8, vcc, v4, v8, vcc
	v_subrev_co_u32_e32 v5, vcc, s28, v5
	v_lshlrev_b64 v[4:5], 2, v[5:6]
	v_mov_b32_e32 v6, s8
	v_add_co_u32_e64 v4, s[0:1], s4, v4
	v_addc_co_u32_e64 v5, s[0:1], v6, v5, s[0:1]
	v_cndmask_b32_e32 v5, v5, v8, vcc
	v_cndmask_b32_e32 v4, v4, v7, vcc
	global_load_dword v4, v[4:5], off
.LBB21_12:
	s_or_b64 exec, exec, s[2:3]
.LBB21_13:
	v_min_u32_e32 v6, s17, v9
	v_sub_u32_e64 v5, v6, s29 clamp
	v_min_u32_e32 v7, s28, v6
	v_cmp_lt_u32_e32 vcc, v5, v7
	s_waitcnt vmcnt(0)
	ds_write2st64_b32 v9, v1, v2 offset1:2
	ds_write2st64_b32 v9, v3, v4 offset0:4 offset1:6
	s_waitcnt lgkmcnt(0)
	s_barrier
	s_and_saveexec_b64 s[0:1], vcc
	s_cbranch_execz .LBB21_17
; %bb.14:
	v_lshlrev_b32_e32 v8, 2, v6
	v_lshl_add_u32 v8, s28, 2, v8
	s_mov_b64 s[2:3], 0
.LBB21_15:                              ; =>This Inner Loop Header: Depth=1
	v_add_u32_e32 v10, v7, v5
	v_lshrrev_b32_e32 v10, 1, v10
	v_not_b32_e32 v11, v10
	v_lshlrev_b32_e32 v12, 2, v10
	v_lshl_add_u32 v11, v11, 2, v8
	ds_read_b32 v12, v12
	ds_read_b32 v11, v11
	v_add_u32_e32 v13, 1, v10
	s_waitcnt lgkmcnt(1)
	v_and_b32_e32 v12, s19, v12
	s_waitcnt lgkmcnt(0)
	v_and_b32_e32 v11, s19, v11
	v_cmp_gt_u32_e32 vcc, v12, v11
	v_cndmask_b32_e32 v7, v7, v10, vcc
	v_cndmask_b32_e32 v5, v13, v5, vcc
	v_cmp_ge_u32_e32 vcc, v5, v7
	s_or_b64 s[2:3], vcc, s[2:3]
	s_andn2_b64 exec, exec, s[2:3]
	s_cbranch_execnz .LBB21_15
; %bb.16:
	s_or_b64 exec, exec, s[2:3]
.LBB21_17:
	s_or_b64 exec, exec, s[0:1]
	v_sub_u32_e32 v6, v6, v5
	v_add_u32_e32 v6, s28, v6
	v_cmp_ge_u32_e32 vcc, s28, v5
	v_cmp_ge_u32_e64 s[0:1], s17, v6
	s_or_b64 s[0:1], vcc, s[0:1]
	v_mov_b32_e32 v10, 0
	v_mov_b32_e32 v11, 0
	;; [unrolled: 1-line block ×4, first 2 shown]
	s_and_saveexec_b64 s[8:9], s[0:1]
	s_cbranch_execz .LBB21_23
; %bb.18:
	v_cmp_gt_u32_e32 vcc, s28, v5
                                        ; implicit-def: $vgpr1
	s_and_saveexec_b64 s[0:1], vcc
; %bb.19:
	v_lshlrev_b32_e32 v1, 2, v5
	ds_read_b32 v1, v1
; %bb.20:
	s_or_b64 exec, exec, s[0:1]
	v_cmp_le_u32_e64 s[0:1], s17, v6
	v_cmp_gt_u32_e64 s[2:3], s17, v6
                                        ; implicit-def: $vgpr2
	s_and_saveexec_b64 s[4:5], s[2:3]
; %bb.21:
	v_lshlrev_b32_e32 v2, 2, v6
	ds_read_b32 v2, v2
; %bb.22:
	s_or_b64 exec, exec, s[4:5]
	s_waitcnt lgkmcnt(0)
	v_and_b32_e32 v3, s19, v2
	v_and_b32_e32 v4, s19, v1
	v_cmp_le_u32_e64 s[2:3], v4, v3
	s_and_b64 s[2:3], vcc, s[2:3]
	s_or_b64 vcc, s[0:1], s[2:3]
	v_mov_b32_e32 v3, s17
	v_mov_b32_e32 v4, s28
	v_cndmask_b32_e32 v13, v6, v5, vcc
	v_cndmask_b32_e32 v7, v3, v4, vcc
	v_add_u32_e32 v8, 1, v13
	v_add_u32_e32 v7, -1, v7
	v_min_u32_e32 v7, v8, v7
	v_lshlrev_b32_e32 v7, 2, v7
	ds_read_b32 v7, v7
	v_cndmask_b32_e32 v6, v8, v6, vcc
	v_cndmask_b32_e32 v5, v5, v8, vcc
	v_cmp_gt_u32_e64 s[2:3], s28, v5
	v_cmp_le_u32_e64 s[0:1], s17, v6
	s_waitcnt lgkmcnt(0)
	v_cndmask_b32_e32 v10, v7, v2, vcc
	v_cndmask_b32_e32 v7, v1, v7, vcc
	v_and_b32_e32 v8, s19, v10
	v_and_b32_e32 v11, s19, v7
	v_cmp_le_u32_e64 s[4:5], v11, v8
	s_and_b64 s[2:3], s[2:3], s[4:5]
	s_or_b64 s[0:1], s[0:1], s[2:3]
	v_cndmask_b32_e64 v12, v6, v5, s[0:1]
	v_cndmask_b32_e64 v8, v3, v4, s[0:1]
	v_add_u32_e32 v11, 1, v12
	v_add_u32_e32 v8, -1, v8
	v_min_u32_e32 v8, v11, v8
	v_lshlrev_b32_e32 v8, 2, v8
	ds_read_b32 v8, v8
	v_cndmask_b32_e64 v6, v11, v6, s[0:1]
	v_cndmask_b32_e64 v5, v5, v11, s[0:1]
	v_cmp_gt_u32_e64 s[4:5], s28, v5
	v_cmp_le_u32_e64 s[2:3], s17, v6
	s_waitcnt lgkmcnt(0)
	v_cndmask_b32_e64 v14, v8, v10, s[0:1]
	v_cndmask_b32_e64 v8, v7, v8, s[0:1]
	v_and_b32_e32 v11, s19, v14
	v_and_b32_e32 v15, s19, v8
	v_cmp_le_u32_e64 s[6:7], v15, v11
	s_and_b64 s[4:5], s[4:5], s[6:7]
	s_or_b64 s[2:3], s[2:3], s[4:5]
	v_cndmask_b32_e64 v11, v6, v5, s[2:3]
	v_cndmask_b32_e64 v3, v3, v4, s[2:3]
	v_add_u32_e32 v4, 1, v11
	v_add_u32_e32 v3, -1, v3
	v_min_u32_e32 v3, v4, v3
	v_lshlrev_b32_e32 v3, 2, v3
	ds_read_b32 v15, v3
	v_cndmask_b32_e32 v1, v2, v1, vcc
	v_cndmask_b32_e64 v2, v10, v7, s[0:1]
	v_cndmask_b32_e64 v3, v14, v8, s[2:3]
	;; [unrolled: 1-line block ×3, first 2 shown]
	s_waitcnt lgkmcnt(0)
	v_cndmask_b32_e64 v7, v15, v14, s[2:3]
	v_cndmask_b32_e64 v8, v8, v15, s[2:3]
	;; [unrolled: 1-line block ×3, first 2 shown]
	v_and_b32_e32 v5, s19, v7
	v_and_b32_e32 v10, s19, v8
	v_cmp_gt_u32_e64 s[0:1], s28, v4
	v_cmp_le_u32_e64 s[2:3], v10, v5
	v_cmp_le_u32_e32 vcc, s17, v6
	s_and_b64 s[0:1], s[0:1], s[2:3]
	s_or_b64 vcc, vcc, s[0:1]
	v_cndmask_b32_e32 v10, v6, v4, vcc
	v_cndmask_b32_e32 v4, v7, v8, vcc
.LBB21_23:
	s_or_b64 exec, exec, s[8:9]
	s_lshl_b64 s[0:1], s[22:23], 3
	s_add_u32 s8, s12, s0
	s_addc_u32 s9, s13, s1
	s_lshl_b64 s[0:1], s[24:25], 3
	s_add_u32 s6, s12, s0
	v_cndmask_b32_e64 v5, 0, 1, s[20:21]
	s_addc_u32 s7, s13, s1
	v_cmp_gt_u32_e64 s[4:5], s28, v0
	v_cmp_ne_u32_e64 s[0:1], 1, v5
	s_andn2_b64 vcc, exec, s[20:21]
	v_cmp_le_u32_e64 s[2:3], s28, v0
	s_barrier
	s_cbranch_vccnz .LBB21_25
; %bb.24:
	v_lshlrev_b32_e32 v8, 3, v0
	v_mov_b32_e32 v5, s9
	v_add_co_u32_e32 v7, vcc, s8, v8
	v_subrev_u32_e32 v6, s28, v0
	v_addc_co_u32_e32 v5, vcc, 0, v5, vcc
	v_lshlrev_b32_e32 v6, 3, v6
	v_mov_b32_e32 v14, s7
	v_add_co_u32_e32 v15, vcc, s6, v6
	v_addc_co_u32_e32 v6, vcc, 0, v14, vcc
	v_cndmask_b32_e64 v6, v6, v5, s[4:5]
	v_cndmask_b32_e64 v5, v15, v7, s[4:5]
	global_load_dwordx2 v[15:16], v[5:6], off
	v_or_b32_e32 v5, 0x80, v0
	v_subrev_u32_e32 v6, s28, v5
	v_min_u32_e32 v6, v5, v6
	v_cmp_gt_u32_e32 vcc, s28, v5
	v_mov_b32_e32 v22, s6
	v_mov_b32_e32 v23, s8
	;; [unrolled: 1-line block ×4, first 2 shown]
	v_cndmask_b32_e32 v5, v22, v23, vcc
	v_lshlrev_b32_e32 v6, 3, v6
	v_cndmask_b32_e32 v14, v7, v21, vcc
	v_add_co_u32_e32 v5, vcc, v5, v6
	v_addc_co_u32_e32 v6, vcc, 0, v14, vcc
	global_load_dwordx2 v[17:18], v[5:6], off
	v_or_b32_e32 v5, 0x100, v0
	v_subrev_u32_e32 v6, s28, v5
	v_min_u32_e32 v6, v5, v6
	v_cmp_gt_u32_e32 vcc, s28, v5
	v_cndmask_b32_e32 v5, v22, v23, vcc
	v_lshlrev_b32_e32 v6, 3, v6
	v_cndmask_b32_e32 v14, v7, v21, vcc
	v_add_co_u32_e32 v5, vcc, v5, v6
	v_addc_co_u32_e32 v6, vcc, 0, v14, vcc
	global_load_dwordx2 v[19:20], v[5:6], off
	v_or_b32_e32 v14, 0x180, v0
	v_subrev_u32_e32 v5, s28, v14
	v_cmp_gt_u32_e32 vcc, s28, v14
	v_cndmask_b32_e32 v6, v7, v21, vcc
	v_min_u32_e32 v7, v14, v5
	v_cndmask_b32_e32 v5, v22, v23, vcc
	s_mov_b64 s[4:5], -1
	s_waitcnt vmcnt(1)
	ds_write2st64_b64 v8, v[15:16], v[17:18] offset1:2
	s_waitcnt vmcnt(0)
	ds_write_b64 v8, v[19:20] offset:2048
	s_cbranch_execz .LBB21_26
	s_branch .LBB21_43
.LBB21_25:
	s_mov_b64 s[4:5], 0
                                        ; implicit-def: $vgpr14
                                        ; implicit-def: $vgpr5_vgpr6
                                        ; implicit-def: $vgpr7
.LBB21_26:
	s_and_saveexec_b64 s[4:5], s[2:3]
	s_xor_b64 s[2:3], exec, s[4:5]
	s_cbranch_execz .LBB21_30
; %bb.27:
	v_subrev_u32_e32 v5, s28, v0
	v_cmp_gt_u32_e32 vcc, s29, v5
	s_and_saveexec_b64 s[4:5], vcc
	s_cbranch_execz .LBB21_29
; %bb.28:
	v_lshlrev_b32_e32 v5, 3, v5
	global_load_dwordx2 v[5:6], v5, s[6:7]
	v_add_u32_e32 v7, v9, v9
	s_waitcnt vmcnt(0)
	ds_write_b64 v7, v[5:6]
.LBB21_29:
	s_or_b64 exec, exec, s[4:5]
.LBB21_30:
	s_or_saveexec_b64 s[2:3], s[2:3]
	v_add_u32_e32 v7, v9, v9
	s_xor_b64 exec, exec, s[2:3]
	s_cbranch_execz .LBB21_32
; %bb.31:
	v_lshlrev_b32_e32 v5, 3, v0
	global_load_dwordx2 v[5:6], v5, s[8:9]
	s_waitcnt vmcnt(0)
	ds_write_b64 v7, v[5:6]
.LBB21_32:
	s_or_b64 exec, exec, s[2:3]
	v_or_b32_e32 v8, 0x80, v0
	v_mov_b32_e32 v5, s22
	v_cmp_le_u32_e32 vcc, s28, v8
	s_mov_b64 s[2:3], -1
	v_mov_b32_e32 v6, s23
	s_and_saveexec_b64 s[4:5], vcc
; %bb.33:
	v_subrev_u32_e32 v8, s28, v8
	v_cmp_gt_u32_e32 vcc, s29, v8
	v_mov_b32_e32 v5, s24
	v_mov_b32_e32 v6, s25
	s_orn2_b64 s[2:3], vcc, exec
; %bb.34:
	s_or_b64 exec, exec, s[4:5]
	s_and_saveexec_b64 s[4:5], s[2:3]
	s_cbranch_execz .LBB21_36
; %bb.35:
	v_lshlrev_b64 v[5:6], 3, v[5:6]
	v_mov_b32_e32 v14, s13
	v_add_co_u32_e32 v5, vcc, s12, v5
	v_addc_co_u32_e32 v6, vcc, v14, v6, vcc
	v_lshlrev_b32_e32 v8, 3, v8
	v_add_co_u32_e32 v5, vcc, v5, v8
	v_addc_co_u32_e32 v6, vcc, 0, v6, vcc
	global_load_dwordx2 v[5:6], v[5:6], off
	s_waitcnt vmcnt(0)
	ds_write_b64 v7, v[5:6] offset:1024
.LBB21_36:
	s_or_b64 exec, exec, s[4:5]
	v_or_b32_e32 v8, 0x100, v0
	v_mov_b32_e32 v5, s22
	v_cmp_le_u32_e32 vcc, s28, v8
	s_mov_b64 s[2:3], -1
	v_mov_b32_e32 v6, s23
	s_and_saveexec_b64 s[4:5], vcc
; %bb.37:
	v_subrev_u32_e32 v8, s28, v8
	v_cmp_gt_u32_e32 vcc, s29, v8
	v_mov_b32_e32 v5, s24
	v_mov_b32_e32 v6, s25
	s_orn2_b64 s[2:3], vcc, exec
; %bb.38:
	s_or_b64 exec, exec, s[4:5]
	s_and_saveexec_b64 s[4:5], s[2:3]
	s_cbranch_execz .LBB21_40
; %bb.39:
	v_lshlrev_b64 v[5:6], 3, v[5:6]
	v_mov_b32_e32 v14, s13
	v_add_co_u32_e32 v5, vcc, s12, v5
	v_addc_co_u32_e32 v6, vcc, v14, v6, vcc
	v_lshlrev_b32_e32 v8, 3, v8
	v_add_co_u32_e32 v5, vcc, v5, v8
	v_addc_co_u32_e32 v6, vcc, 0, v6, vcc
	global_load_dwordx2 v[5:6], v[5:6], off
	s_waitcnt vmcnt(0)
	ds_write_b64 v7, v[5:6] offset:2048
.LBB21_40:
	s_or_b64 exec, exec, s[4:5]
	v_or_b32_e32 v14, 0x180, v0
	v_mov_b32_e32 v5, s8
	v_cmp_le_u32_e32 vcc, s28, v14
	s_mov_b64 s[4:5], -1
	v_mov_b32_e32 v6, s9
	v_mov_b32_e32 v7, v14
	s_and_saveexec_b64 s[2:3], vcc
; %bb.41:
	v_subrev_u32_e32 v7, s28, v14
	v_cmp_gt_u32_e32 vcc, s29, v7
	v_mov_b32_e32 v5, s6
	v_mov_b32_e32 v6, s7
	s_orn2_b64 s[4:5], vcc, exec
; %bb.42:
	s_or_b64 exec, exec, s[2:3]
.LBB21_43:
	s_and_saveexec_b64 s[2:3], s[4:5]
	s_cbranch_execz .LBB21_45
; %bb.44:
	v_mov_b32_e32 v8, 0
	v_lshlrev_b64 v[7:8], 3, v[7:8]
	v_add_co_u32_e32 v5, vcc, v5, v7
	v_addc_co_u32_e32 v6, vcc, v6, v8, vcc
	global_load_dwordx2 v[5:6], v[5:6], off
	v_lshlrev_b32_e32 v7, 3, v14
	s_waitcnt vmcnt(0)
	ds_write_b64 v7, v[5:6]
.LBB21_45:
	s_or_b64 exec, exec, s[2:3]
	s_and_b64 vcc, exec, s[0:1]
	v_add_u32_e32 v5, s18, v9
	s_waitcnt lgkmcnt(0)
	s_barrier
	s_cbranch_vccnz .LBB21_47
; %bb.46:
	v_lshlrev_b32_e32 v14, 3, v13
	v_lshlrev_b32_e32 v16, 3, v12
	;; [unrolled: 1-line block ×3, first 2 shown]
	v_mov_b32_e32 v6, 0
	ds_read_b64 v[14:15], v14
	ds_read_b64 v[16:17], v16
	;; [unrolled: 1-line block ×3, first 2 shown]
	v_lshlrev_b64 v[7:8], 3, v[5:6]
	v_mov_b32_e32 v20, s15
	v_add_co_u32_e32 v7, vcc, s14, v7
	v_addc_co_u32_e32 v8, vcc, v20, v8, vcc
	s_mov_b64 s[0:1], -1
	s_waitcnt lgkmcnt(1)
	global_store_dwordx4 v[7:8], v[14:17], off
	s_waitcnt lgkmcnt(0)
	global_store_dwordx2 v[7:8], v[18:19], off offset:16
	s_cbranch_execz .LBB21_48
	s_branch .LBB21_57
.LBB21_47:
	s_mov_b64 s[0:1], 0
.LBB21_48:
	v_cmp_gt_u32_e32 vcc, s17, v9
	s_and_saveexec_b64 s[2:3], vcc
	s_cbranch_execz .LBB21_50
; %bb.49:
	v_lshlrev_b32_e32 v8, 3, v13
	v_mov_b32_e32 v6, 0
	ds_read_b64 v[13:14], v8
	v_lshlrev_b64 v[6:7], 3, v[5:6]
	v_mov_b32_e32 v15, s15
	v_add_co_u32_e32 v6, vcc, s14, v6
	v_addc_co_u32_e32 v7, vcc, v15, v7, vcc
	s_waitcnt lgkmcnt(0)
	global_store_dwordx2 v[6:7], v[13:14], off
.LBB21_50:
	s_or_b64 exec, exec, s[2:3]
	v_or_b32_e32 v6, 1, v9
	v_cmp_gt_u32_e32 vcc, s17, v6
	s_and_saveexec_b64 s[2:3], vcc
	s_cbranch_execz .LBB21_52
; %bb.51:
	v_lshlrev_b32_e32 v8, 3, v12
	v_mov_b32_e32 v6, 0
	ds_read_b64 v[12:13], v8
	v_lshlrev_b64 v[6:7], 3, v[5:6]
	v_mov_b32_e32 v14, s15
	v_add_co_u32_e32 v6, vcc, s14, v6
	v_addc_co_u32_e32 v7, vcc, v14, v7, vcc
	s_waitcnt lgkmcnt(0)
	global_store_dwordx2 v[6:7], v[12:13], off offset:8
.LBB21_52:
	s_or_b64 exec, exec, s[2:3]
	v_or_b32_e32 v6, 2, v9
	v_cmp_gt_u32_e32 vcc, s17, v6
	s_and_saveexec_b64 s[2:3], vcc
	s_cbranch_execz .LBB21_54
; %bb.53:
	v_lshlrev_b32_e32 v8, 3, v11
	v_mov_b32_e32 v6, 0
	ds_read_b64 v[11:12], v8
	v_lshlrev_b64 v[6:7], 3, v[5:6]
	v_mov_b32_e32 v13, s15
	v_add_co_u32_e32 v6, vcc, s14, v6
	v_addc_co_u32_e32 v7, vcc, v13, v7, vcc
	s_waitcnt lgkmcnt(0)
	global_store_dwordx2 v[6:7], v[11:12], off offset:16
.LBB21_54:
	s_or_b64 exec, exec, s[2:3]
	v_or_b32_e32 v6, 3, v9
	v_cmp_gt_u32_e32 vcc, s17, v6
	s_and_saveexec_b64 s[2:3], vcc
; %bb.55:
	v_mov_b32_e32 v6, 0
	s_or_b64 s[0:1], s[0:1], exec
; %bb.56:
	s_or_b64 exec, exec, s[2:3]
.LBB21_57:
	s_and_saveexec_b64 s[2:3], s[0:1]
	s_cbranch_execz .LBB21_59
; %bb.58:
	v_lshlrev_b32_e32 v7, 3, v10
	ds_read_b64 v[7:8], v7
	v_lshlrev_b64 v[5:6], 3, v[5:6]
	v_mov_b32_e32 v10, s15
	v_add_co_u32_e32 v5, vcc, s14, v5
	v_addc_co_u32_e32 v6, vcc, v10, v6, vcc
	s_waitcnt lgkmcnt(0)
	global_store_dwordx2 v[5:6], v[7:8], off offset:24
.LBB21_59:
	s_or_b64 exec, exec, s[2:3]
	v_lshrrev_b32_e32 v5, 3, v0
	v_lshlrev_b32_e32 v6, 2, v9
	v_lshl_add_u32 v6, v5, 2, v6
	s_waitcnt vmcnt(0)
	s_barrier
	s_barrier
	ds_write2_b32 v6, v1, v2 offset1:1
	ds_write2_b32 v6, v3, v4 offset0:2 offset1:3
	v_and_b32_e32 v1, 12, v5
	v_or_b32_e32 v5, 0x80, v0
	v_add_u32_e32 v7, v1, v9
	v_lshrrev_b32_e32 v1, 3, v5
	v_and_b32_e32 v1, 28, v1
	v_or_b32_e32 v4, 0x100, v0
	s_mov_b32 s19, 0
	v_add_u32_e32 v8, v1, v9
	v_lshrrev_b32_e32 v1, 3, v4
	s_lshl_b64 s[0:1], s[18:19], 2
	v_and_b32_e32 v1, 44, v1
	v_or_b32_e32 v3, 0x180, v0
	s_add_u32 s0, s10, s0
	v_add_u32_e32 v10, v1, v9
	v_lshrrev_b32_e32 v1, 3, v3
	s_addc_u32 s1, s11, s1
	v_and_b32_e32 v1, 60, v1
	v_add_u32_e32 v11, v1, v9
	v_mov_b32_e32 v2, s1
	v_add_co_u32_e32 v1, vcc, s0, v9
	v_addc_co_u32_e32 v2, vcc, 0, v2, vcc
	s_and_b64 vcc, exec, s[20:21]
	s_waitcnt lgkmcnt(0)
	s_cbranch_vccz .LBB21_61
; %bb.60:
	s_barrier
	ds_read_b32 v9, v7
	ds_read_b32 v12, v8 offset:512
	ds_read_b32 v13, v10 offset:1024
	;; [unrolled: 1-line block ×3, first 2 shown]
	s_waitcnt lgkmcnt(3)
	global_store_dword v[1:2], v9, off
	s_waitcnt lgkmcnt(2)
	global_store_dword v[1:2], v12, off offset:512
	s_waitcnt lgkmcnt(1)
	global_store_dword v[1:2], v13, off offset:1024
	s_mov_b64 s[0:1], -1
	s_cbranch_execz .LBB21_62
	s_branch .LBB21_67
.LBB21_61:
	s_mov_b64 s[0:1], 0
                                        ; implicit-def: $vgpr6
.LBB21_62:
	s_waitcnt vmcnt(0) lgkmcnt(0)
	s_barrier
	ds_read_b32 v9, v8 offset:512
	ds_read_b32 v8, v10 offset:1024
	;; [unrolled: 1-line block ×3, first 2 shown]
	s_sub_i32 s2, s16, s18
	v_cmp_gt_u32_e32 vcc, s2, v0
	s_and_saveexec_b64 s[0:1], vcc
	s_cbranch_execnz .LBB21_70
; %bb.63:
	s_or_b64 exec, exec, s[0:1]
	v_cmp_gt_u32_e32 vcc, s2, v5
	s_and_saveexec_b64 s[0:1], vcc
	s_cbranch_execnz .LBB21_71
.LBB21_64:
	s_or_b64 exec, exec, s[0:1]
	v_cmp_gt_u32_e32 vcc, s2, v4
	s_and_saveexec_b64 s[0:1], vcc
	s_cbranch_execz .LBB21_66
.LBB21_65:
	s_waitcnt lgkmcnt(1)
	global_store_dword v[1:2], v8, off offset:1024
.LBB21_66:
	s_or_b64 exec, exec, s[0:1]
	v_cmp_gt_u32_e64 s[0:1], s2, v3
.LBB21_67:
	s_and_saveexec_b64 s[2:3], s[0:1]
	s_cbranch_execz .LBB21_69
; %bb.68:
	s_waitcnt lgkmcnt(0)
	global_store_dword v[1:2], v6, off offset:1536
.LBB21_69:
	s_endpgm
.LBB21_70:
	ds_read_b32 v0, v7
	s_waitcnt lgkmcnt(0)
	global_store_dword v[1:2], v0, off
	s_or_b64 exec, exec, s[0:1]
	v_cmp_gt_u32_e32 vcc, s2, v5
	s_and_saveexec_b64 s[0:1], vcc
	s_cbranch_execz .LBB21_64
.LBB21_71:
	s_waitcnt lgkmcnt(2)
	global_store_dword v[1:2], v9, off offset:512
	s_or_b64 exec, exec, s[0:1]
	v_cmp_gt_u32_e32 vcc, s2, v4
	s_and_saveexec_b64 s[0:1], vcc
	s_cbranch_execnz .LBB21_65
	s_branch .LBB21_66
	.section	.rodata,"a",@progbits
	.p2align	6, 0x0
	.amdhsa_kernel _ZN7rocprim17ROCPRIM_304000_NS6detail35device_block_merge_mergepath_kernelINS1_37wrapped_merge_sort_block_merge_configINS0_14default_configEjN2at4cuda3cub6detail10OpaqueTypeILi8EEEEEPjSC_PSA_SD_jNS1_19radix_merge_compareILb0ELb1EjNS0_19identity_decomposerEEEEEvT0_T1_T2_T3_T4_SL_jT5_PKSL_NS1_7vsmem_tE
		.amdhsa_group_segment_fixed_size 4112
		.amdhsa_private_segment_fixed_size 0
		.amdhsa_kernarg_size 320
		.amdhsa_user_sgpr_count 6
		.amdhsa_user_sgpr_private_segment_buffer 1
		.amdhsa_user_sgpr_dispatch_ptr 0
		.amdhsa_user_sgpr_queue_ptr 0
		.amdhsa_user_sgpr_kernarg_segment_ptr 1
		.amdhsa_user_sgpr_dispatch_id 0
		.amdhsa_user_sgpr_flat_scratch_init 0
		.amdhsa_user_sgpr_private_segment_size 0
		.amdhsa_uses_dynamic_stack 0
		.amdhsa_system_sgpr_private_segment_wavefront_offset 0
		.amdhsa_system_sgpr_workgroup_id_x 1
		.amdhsa_system_sgpr_workgroup_id_y 1
		.amdhsa_system_sgpr_workgroup_id_z 1
		.amdhsa_system_sgpr_workgroup_info 0
		.amdhsa_system_vgpr_workitem_id 0
		.amdhsa_next_free_vgpr 29
		.amdhsa_next_free_sgpr 61
		.amdhsa_reserve_vcc 1
		.amdhsa_reserve_flat_scratch 0
		.amdhsa_float_round_mode_32 0
		.amdhsa_float_round_mode_16_64 0
		.amdhsa_float_denorm_mode_32 3
		.amdhsa_float_denorm_mode_16_64 3
		.amdhsa_dx10_clamp 1
		.amdhsa_ieee_mode 1
		.amdhsa_fp16_overflow 0
		.amdhsa_exception_fp_ieee_invalid_op 0
		.amdhsa_exception_fp_denorm_src 0
		.amdhsa_exception_fp_ieee_div_zero 0
		.amdhsa_exception_fp_ieee_overflow 0
		.amdhsa_exception_fp_ieee_underflow 0
		.amdhsa_exception_fp_ieee_inexact 0
		.amdhsa_exception_int_div_zero 0
	.end_amdhsa_kernel
	.section	.text._ZN7rocprim17ROCPRIM_304000_NS6detail35device_block_merge_mergepath_kernelINS1_37wrapped_merge_sort_block_merge_configINS0_14default_configEjN2at4cuda3cub6detail10OpaqueTypeILi8EEEEEPjSC_PSA_SD_jNS1_19radix_merge_compareILb0ELb1EjNS0_19identity_decomposerEEEEEvT0_T1_T2_T3_T4_SL_jT5_PKSL_NS1_7vsmem_tE,"axG",@progbits,_ZN7rocprim17ROCPRIM_304000_NS6detail35device_block_merge_mergepath_kernelINS1_37wrapped_merge_sort_block_merge_configINS0_14default_configEjN2at4cuda3cub6detail10OpaqueTypeILi8EEEEEPjSC_PSA_SD_jNS1_19radix_merge_compareILb0ELb1EjNS0_19identity_decomposerEEEEEvT0_T1_T2_T3_T4_SL_jT5_PKSL_NS1_7vsmem_tE,comdat
.Lfunc_end21:
	.size	_ZN7rocprim17ROCPRIM_304000_NS6detail35device_block_merge_mergepath_kernelINS1_37wrapped_merge_sort_block_merge_configINS0_14default_configEjN2at4cuda3cub6detail10OpaqueTypeILi8EEEEEPjSC_PSA_SD_jNS1_19radix_merge_compareILb0ELb1EjNS0_19identity_decomposerEEEEEvT0_T1_T2_T3_T4_SL_jT5_PKSL_NS1_7vsmem_tE, .Lfunc_end21-_ZN7rocprim17ROCPRIM_304000_NS6detail35device_block_merge_mergepath_kernelINS1_37wrapped_merge_sort_block_merge_configINS0_14default_configEjN2at4cuda3cub6detail10OpaqueTypeILi8EEEEEPjSC_PSA_SD_jNS1_19radix_merge_compareILb0ELb1EjNS0_19identity_decomposerEEEEEvT0_T1_T2_T3_T4_SL_jT5_PKSL_NS1_7vsmem_tE
                                        ; -- End function
	.set _ZN7rocprim17ROCPRIM_304000_NS6detail35device_block_merge_mergepath_kernelINS1_37wrapped_merge_sort_block_merge_configINS0_14default_configEjN2at4cuda3cub6detail10OpaqueTypeILi8EEEEEPjSC_PSA_SD_jNS1_19radix_merge_compareILb0ELb1EjNS0_19identity_decomposerEEEEEvT0_T1_T2_T3_T4_SL_jT5_PKSL_NS1_7vsmem_tE.num_vgpr, 24
	.set _ZN7rocprim17ROCPRIM_304000_NS6detail35device_block_merge_mergepath_kernelINS1_37wrapped_merge_sort_block_merge_configINS0_14default_configEjN2at4cuda3cub6detail10OpaqueTypeILi8EEEEEPjSC_PSA_SD_jNS1_19radix_merge_compareILb0ELb1EjNS0_19identity_decomposerEEEEEvT0_T1_T2_T3_T4_SL_jT5_PKSL_NS1_7vsmem_tE.num_agpr, 0
	.set _ZN7rocprim17ROCPRIM_304000_NS6detail35device_block_merge_mergepath_kernelINS1_37wrapped_merge_sort_block_merge_configINS0_14default_configEjN2at4cuda3cub6detail10OpaqueTypeILi8EEEEEPjSC_PSA_SD_jNS1_19radix_merge_compareILb0ELb1EjNS0_19identity_decomposerEEEEEvT0_T1_T2_T3_T4_SL_jT5_PKSL_NS1_7vsmem_tE.numbered_sgpr, 32
	.set _ZN7rocprim17ROCPRIM_304000_NS6detail35device_block_merge_mergepath_kernelINS1_37wrapped_merge_sort_block_merge_configINS0_14default_configEjN2at4cuda3cub6detail10OpaqueTypeILi8EEEEEPjSC_PSA_SD_jNS1_19radix_merge_compareILb0ELb1EjNS0_19identity_decomposerEEEEEvT0_T1_T2_T3_T4_SL_jT5_PKSL_NS1_7vsmem_tE.num_named_barrier, 0
	.set _ZN7rocprim17ROCPRIM_304000_NS6detail35device_block_merge_mergepath_kernelINS1_37wrapped_merge_sort_block_merge_configINS0_14default_configEjN2at4cuda3cub6detail10OpaqueTypeILi8EEEEEPjSC_PSA_SD_jNS1_19radix_merge_compareILb0ELb1EjNS0_19identity_decomposerEEEEEvT0_T1_T2_T3_T4_SL_jT5_PKSL_NS1_7vsmem_tE.private_seg_size, 0
	.set _ZN7rocprim17ROCPRIM_304000_NS6detail35device_block_merge_mergepath_kernelINS1_37wrapped_merge_sort_block_merge_configINS0_14default_configEjN2at4cuda3cub6detail10OpaqueTypeILi8EEEEEPjSC_PSA_SD_jNS1_19radix_merge_compareILb0ELb1EjNS0_19identity_decomposerEEEEEvT0_T1_T2_T3_T4_SL_jT5_PKSL_NS1_7vsmem_tE.uses_vcc, 1
	.set _ZN7rocprim17ROCPRIM_304000_NS6detail35device_block_merge_mergepath_kernelINS1_37wrapped_merge_sort_block_merge_configINS0_14default_configEjN2at4cuda3cub6detail10OpaqueTypeILi8EEEEEPjSC_PSA_SD_jNS1_19radix_merge_compareILb0ELb1EjNS0_19identity_decomposerEEEEEvT0_T1_T2_T3_T4_SL_jT5_PKSL_NS1_7vsmem_tE.uses_flat_scratch, 0
	.set _ZN7rocprim17ROCPRIM_304000_NS6detail35device_block_merge_mergepath_kernelINS1_37wrapped_merge_sort_block_merge_configINS0_14default_configEjN2at4cuda3cub6detail10OpaqueTypeILi8EEEEEPjSC_PSA_SD_jNS1_19radix_merge_compareILb0ELb1EjNS0_19identity_decomposerEEEEEvT0_T1_T2_T3_T4_SL_jT5_PKSL_NS1_7vsmem_tE.has_dyn_sized_stack, 0
	.set _ZN7rocprim17ROCPRIM_304000_NS6detail35device_block_merge_mergepath_kernelINS1_37wrapped_merge_sort_block_merge_configINS0_14default_configEjN2at4cuda3cub6detail10OpaqueTypeILi8EEEEEPjSC_PSA_SD_jNS1_19radix_merge_compareILb0ELb1EjNS0_19identity_decomposerEEEEEvT0_T1_T2_T3_T4_SL_jT5_PKSL_NS1_7vsmem_tE.has_recursion, 0
	.set _ZN7rocprim17ROCPRIM_304000_NS6detail35device_block_merge_mergepath_kernelINS1_37wrapped_merge_sort_block_merge_configINS0_14default_configEjN2at4cuda3cub6detail10OpaqueTypeILi8EEEEEPjSC_PSA_SD_jNS1_19radix_merge_compareILb0ELb1EjNS0_19identity_decomposerEEEEEvT0_T1_T2_T3_T4_SL_jT5_PKSL_NS1_7vsmem_tE.has_indirect_call, 0
	.section	.AMDGPU.csdata,"",@progbits
; Kernel info:
; codeLenInByte = 3316
; TotalNumSgprs: 36
; NumVgprs: 24
; ScratchSize: 0
; MemoryBound: 0
; FloatMode: 240
; IeeeMode: 1
; LDSByteSize: 4112 bytes/workgroup (compile time only)
; SGPRBlocks: 8
; VGPRBlocks: 7
; NumSGPRsForWavesPerEU: 65
; NumVGPRsForWavesPerEU: 29
; Occupancy: 8
; WaveLimiterHint : 1
; COMPUTE_PGM_RSRC2:SCRATCH_EN: 0
; COMPUTE_PGM_RSRC2:USER_SGPR: 6
; COMPUTE_PGM_RSRC2:TRAP_HANDLER: 0
; COMPUTE_PGM_RSRC2:TGID_X_EN: 1
; COMPUTE_PGM_RSRC2:TGID_Y_EN: 1
; COMPUTE_PGM_RSRC2:TGID_Z_EN: 1
; COMPUTE_PGM_RSRC2:TIDIG_COMP_CNT: 0
	.section	.text._ZN7rocprim17ROCPRIM_304000_NS6detail33device_block_merge_oddeven_kernelINS1_37wrapped_merge_sort_block_merge_configINS0_14default_configEjN2at4cuda3cub6detail10OpaqueTypeILi8EEEEEPjSC_PSA_SD_jNS1_19radix_merge_compareILb0ELb1EjNS0_19identity_decomposerEEEEEvT0_T1_T2_T3_T4_SL_T5_,"axG",@progbits,_ZN7rocprim17ROCPRIM_304000_NS6detail33device_block_merge_oddeven_kernelINS1_37wrapped_merge_sort_block_merge_configINS0_14default_configEjN2at4cuda3cub6detail10OpaqueTypeILi8EEEEEPjSC_PSA_SD_jNS1_19radix_merge_compareILb0ELb1EjNS0_19identity_decomposerEEEEEvT0_T1_T2_T3_T4_SL_T5_,comdat
	.protected	_ZN7rocprim17ROCPRIM_304000_NS6detail33device_block_merge_oddeven_kernelINS1_37wrapped_merge_sort_block_merge_configINS0_14default_configEjN2at4cuda3cub6detail10OpaqueTypeILi8EEEEEPjSC_PSA_SD_jNS1_19radix_merge_compareILb0ELb1EjNS0_19identity_decomposerEEEEEvT0_T1_T2_T3_T4_SL_T5_ ; -- Begin function _ZN7rocprim17ROCPRIM_304000_NS6detail33device_block_merge_oddeven_kernelINS1_37wrapped_merge_sort_block_merge_configINS0_14default_configEjN2at4cuda3cub6detail10OpaqueTypeILi8EEEEEPjSC_PSA_SD_jNS1_19radix_merge_compareILb0ELb1EjNS0_19identity_decomposerEEEEEvT0_T1_T2_T3_T4_SL_T5_
	.globl	_ZN7rocprim17ROCPRIM_304000_NS6detail33device_block_merge_oddeven_kernelINS1_37wrapped_merge_sort_block_merge_configINS0_14default_configEjN2at4cuda3cub6detail10OpaqueTypeILi8EEEEEPjSC_PSA_SD_jNS1_19radix_merge_compareILb0ELb1EjNS0_19identity_decomposerEEEEEvT0_T1_T2_T3_T4_SL_T5_
	.p2align	8
	.type	_ZN7rocprim17ROCPRIM_304000_NS6detail33device_block_merge_oddeven_kernelINS1_37wrapped_merge_sort_block_merge_configINS0_14default_configEjN2at4cuda3cub6detail10OpaqueTypeILi8EEEEEPjSC_PSA_SD_jNS1_19radix_merge_compareILb0ELb1EjNS0_19identity_decomposerEEEEEvT0_T1_T2_T3_T4_SL_T5_,@function
_ZN7rocprim17ROCPRIM_304000_NS6detail33device_block_merge_oddeven_kernelINS1_37wrapped_merge_sort_block_merge_configINS0_14default_configEjN2at4cuda3cub6detail10OpaqueTypeILi8EEEEEPjSC_PSA_SD_jNS1_19radix_merge_compareILb0ELb1EjNS0_19identity_decomposerEEEEEvT0_T1_T2_T3_T4_SL_T5_: ; @_ZN7rocprim17ROCPRIM_304000_NS6detail33device_block_merge_oddeven_kernelINS1_37wrapped_merge_sort_block_merge_configINS0_14default_configEjN2at4cuda3cub6detail10OpaqueTypeILi8EEEEEPjSC_PSA_SD_jNS1_19radix_merge_compareILb0ELb1EjNS0_19identity_decomposerEEEEEvT0_T1_T2_T3_T4_SL_T5_
; %bb.0:
	s_load_dwordx4 s[16:19], s[4:5], 0x20
	s_waitcnt lgkmcnt(0)
	s_lshr_b32 s0, s16, 7
	s_cmp_eq_u32 s6, s0
	s_cselect_b64 s[20:21], -1, 0
	s_cmp_lg_u32 s6, s0
	s_cselect_b64 s[0:1], -1, 0
	s_lshl_b32 s22, s6, 7
	s_sub_i32 s2, s16, s22
	v_cmp_gt_u32_e64 s[2:3], s2, v0
	s_or_b64 s[0:1], s[0:1], s[2:3]
	s_and_saveexec_b64 s[8:9], s[0:1]
	s_cbranch_execz .LBB22_24
; %bb.1:
	s_load_dwordx8 s[8:15], s[4:5], 0x0
	s_mov_b32 s23, 0
	s_lshl_b64 s[0:1], s[22:23], 2
	v_lshlrev_b32_e32 v4, 3, v0
	v_lshlrev_b32_e32 v3, 2, v0
	s_waitcnt lgkmcnt(0)
	s_add_u32 s0, s8, s0
	s_addc_u32 s1, s9, s1
	s_lshl_b64 s[4:5], s[22:23], 3
	s_add_u32 s4, s12, s4
	s_addc_u32 s5, s13, s5
	global_load_dwordx2 v[1:2], v4, s[4:5]
	global_load_dword v5, v3, s[0:1]
	s_lshr_b32 s0, s17, 7
	s_sub_i32 s1, 0, s0
	s_and_b32 s1, s6, s1
	s_and_b32 s0, s1, s0
	s_lshl_b32 s13, s1, 7
	s_sub_i32 s6, 0, s17
	s_cmp_eq_u32 s0, 0
	s_cselect_b64 s[0:1], -1, 0
	s_and_b64 s[4:5], s[0:1], exec
	s_cselect_b32 s6, s17, s6
	s_add_i32 s6, s6, s13
	s_mov_b64 s[4:5], -1
	s_cmp_gt_u32 s16, s6
	v_add_u32_e32 v3, s22, v0
	s_cbranch_scc1 .LBB22_9
; %bb.2:
	s_and_b64 vcc, exec, s[20:21]
	s_cbranch_vccz .LBB22_6
; %bb.3:
	v_cmp_gt_u32_e32 vcc, s16, v3
	s_and_saveexec_b64 s[4:5], vcc
	s_cbranch_execz .LBB22_5
; %bb.4:
	v_mov_b32_e32 v4, 0
	v_lshlrev_b64 v[6:7], 3, v[3:4]
	v_mov_b32_e32 v0, s15
	v_add_co_u32_e32 v6, vcc, s14, v6
	v_lshlrev_b64 v[8:9], 2, v[3:4]
	v_addc_co_u32_e32 v7, vcc, v0, v7, vcc
	v_mov_b32_e32 v0, s11
	v_add_co_u32_e32 v8, vcc, s10, v8
	v_addc_co_u32_e32 v9, vcc, v0, v9, vcc
	s_waitcnt vmcnt(0)
	global_store_dword v[8:9], v5, off
	global_store_dwordx2 v[6:7], v[1:2], off
.LBB22_5:
	s_or_b64 exec, exec, s[4:5]
	s_mov_b64 s[4:5], 0
.LBB22_6:
	s_andn2_b64 vcc, exec, s[4:5]
	s_cbranch_vccnz .LBB22_8
; %bb.7:
	v_mov_b32_e32 v4, 0
	v_lshlrev_b64 v[6:7], 2, v[3:4]
	v_mov_b32_e32 v0, s11
	v_add_co_u32_e32 v6, vcc, s10, v6
	v_lshlrev_b64 v[8:9], 3, v[3:4]
	v_addc_co_u32_e32 v7, vcc, v0, v7, vcc
	v_mov_b32_e32 v0, s15
	v_add_co_u32_e32 v8, vcc, s14, v8
	v_addc_co_u32_e32 v9, vcc, v0, v9, vcc
	s_waitcnt vmcnt(0)
	global_store_dword v[6:7], v5, off
	global_store_dwordx2 v[8:9], v[1:2], off
.LBB22_8:
	s_mov_b64 s[4:5], 0
.LBB22_9:
	s_andn2_b64 vcc, exec, s[4:5]
	s_cbranch_vccnz .LBB22_24
; %bb.10:
	s_min_u32 s7, s6, s16
	s_add_i32 s4, s7, s17
	s_min_u32 s12, s4, s16
	s_min_u32 s4, s13, s7
	s_add_i32 s13, s13, s7
	v_subrev_u32_e32 v0, s13, v3
	v_add_u32_e32 v0, s4, v0
	s_waitcnt vmcnt(0)
	v_and_b32_e32 v6, s18, v5
	s_mov_b64 s[4:5], -1
	s_and_b64 vcc, exec, s[20:21]
	s_cbranch_vccz .LBB22_18
; %bb.11:
	s_and_saveexec_b64 s[4:5], s[2:3]
	s_cbranch_execz .LBB22_17
; %bb.12:
	s_cmp_ge_u32 s6, s12
	v_mov_b32_e32 v7, s7
	s_cbranch_scc1 .LBB22_16
; %bb.13:
	s_mov_b64 s[2:3], 0
	v_mov_b32_e32 v8, s12
	v_mov_b32_e32 v7, s7
	v_mov_b32_e32 v4, 0
	v_mov_b32_e32 v9, s9
.LBB22_14:                              ; =>This Inner Loop Header: Depth=1
	v_add_u32_e32 v3, v7, v8
	v_lshrrev_b32_e32 v3, 1, v3
	v_lshlrev_b64 v[10:11], 2, v[3:4]
	v_add_co_u32_e32 v10, vcc, s8, v10
	v_addc_co_u32_e32 v11, vcc, v9, v11, vcc
	global_load_dword v10, v[10:11], off
	v_add_u32_e32 v11, 1, v3
	s_waitcnt vmcnt(0)
	v_and_b32_e32 v10, s18, v10
	v_cmp_gt_u32_e32 vcc, v6, v10
	v_cndmask_b32_e64 v12, 0, 1, vcc
	v_cmp_le_u32_e32 vcc, v10, v6
	v_cndmask_b32_e64 v10, 0, 1, vcc
	v_cndmask_b32_e64 v10, v10, v12, s[0:1]
	v_and_b32_e32 v10, 1, v10
	v_cmp_eq_u32_e32 vcc, 1, v10
	v_cndmask_b32_e32 v8, v3, v8, vcc
	v_cndmask_b32_e32 v7, v7, v11, vcc
	v_cmp_ge_u32_e32 vcc, v7, v8
	s_or_b64 s[2:3], vcc, s[2:3]
	s_andn2_b64 exec, exec, s[2:3]
	s_cbranch_execnz .LBB22_14
; %bb.15:
	s_or_b64 exec, exec, s[2:3]
.LBB22_16:
	v_add_u32_e32 v3, v7, v0
	v_mov_b32_e32 v4, 0
	v_lshlrev_b64 v[7:8], 2, v[3:4]
	v_mov_b32_e32 v9, s11
	v_add_co_u32_e32 v7, vcc, s10, v7
	v_lshlrev_b64 v[3:4], 3, v[3:4]
	v_addc_co_u32_e32 v8, vcc, v9, v8, vcc
	global_store_dword v[7:8], v5, off
	v_mov_b32_e32 v7, s15
	v_add_co_u32_e32 v3, vcc, s14, v3
	v_addc_co_u32_e32 v4, vcc, v7, v4, vcc
	global_store_dwordx2 v[3:4], v[1:2], off
.LBB22_17:
	s_or_b64 exec, exec, s[4:5]
	s_mov_b64 s[4:5], 0
.LBB22_18:
	s_andn2_b64 vcc, exec, s[4:5]
	s_cbranch_vccnz .LBB22_24
; %bb.19:
	s_cmp_ge_u32 s6, s12
	v_mov_b32_e32 v7, s7
	s_cbranch_scc1 .LBB22_23
; %bb.20:
	s_mov_b64 s[2:3], 0
	v_mov_b32_e32 v8, s12
	v_mov_b32_e32 v7, s7
	;; [unrolled: 1-line block ×4, first 2 shown]
.LBB22_21:                              ; =>This Inner Loop Header: Depth=1
	v_add_u32_e32 v3, v7, v8
	v_lshrrev_b32_e32 v3, 1, v3
	v_lshlrev_b64 v[10:11], 2, v[3:4]
	v_add_co_u32_e32 v10, vcc, s8, v10
	v_addc_co_u32_e32 v11, vcc, v9, v11, vcc
	global_load_dword v10, v[10:11], off
	v_add_u32_e32 v11, 1, v3
	s_waitcnt vmcnt(0)
	v_and_b32_e32 v10, s18, v10
	v_cmp_gt_u32_e32 vcc, v6, v10
	v_cndmask_b32_e64 v12, 0, 1, vcc
	v_cmp_le_u32_e32 vcc, v10, v6
	v_cndmask_b32_e64 v10, 0, 1, vcc
	v_cndmask_b32_e64 v10, v10, v12, s[0:1]
	v_and_b32_e32 v10, 1, v10
	v_cmp_eq_u32_e32 vcc, 1, v10
	v_cndmask_b32_e32 v8, v3, v8, vcc
	v_cndmask_b32_e32 v7, v7, v11, vcc
	v_cmp_ge_u32_e32 vcc, v7, v8
	s_or_b64 s[2:3], vcc, s[2:3]
	s_andn2_b64 exec, exec, s[2:3]
	s_cbranch_execnz .LBB22_21
; %bb.22:
	s_or_b64 exec, exec, s[2:3]
.LBB22_23:
	v_add_u32_e32 v3, v7, v0
	v_mov_b32_e32 v4, 0
	v_lshlrev_b64 v[6:7], 2, v[3:4]
	v_mov_b32_e32 v0, s11
	v_add_co_u32_e32 v6, vcc, s10, v6
	v_lshlrev_b64 v[3:4], 3, v[3:4]
	v_addc_co_u32_e32 v7, vcc, v0, v7, vcc
	v_mov_b32_e32 v0, s15
	v_add_co_u32_e32 v3, vcc, s14, v3
	v_addc_co_u32_e32 v4, vcc, v0, v4, vcc
	global_store_dword v[6:7], v5, off
	global_store_dwordx2 v[3:4], v[1:2], off
.LBB22_24:
	s_endpgm
	.section	.rodata,"a",@progbits
	.p2align	6, 0x0
	.amdhsa_kernel _ZN7rocprim17ROCPRIM_304000_NS6detail33device_block_merge_oddeven_kernelINS1_37wrapped_merge_sort_block_merge_configINS0_14default_configEjN2at4cuda3cub6detail10OpaqueTypeILi8EEEEEPjSC_PSA_SD_jNS1_19radix_merge_compareILb0ELb1EjNS0_19identity_decomposerEEEEEvT0_T1_T2_T3_T4_SL_T5_
		.amdhsa_group_segment_fixed_size 0
		.amdhsa_private_segment_fixed_size 0
		.amdhsa_kernarg_size 44
		.amdhsa_user_sgpr_count 6
		.amdhsa_user_sgpr_private_segment_buffer 1
		.amdhsa_user_sgpr_dispatch_ptr 0
		.amdhsa_user_sgpr_queue_ptr 0
		.amdhsa_user_sgpr_kernarg_segment_ptr 1
		.amdhsa_user_sgpr_dispatch_id 0
		.amdhsa_user_sgpr_flat_scratch_init 0
		.amdhsa_user_sgpr_private_segment_size 0
		.amdhsa_uses_dynamic_stack 0
		.amdhsa_system_sgpr_private_segment_wavefront_offset 0
		.amdhsa_system_sgpr_workgroup_id_x 1
		.amdhsa_system_sgpr_workgroup_id_y 0
		.amdhsa_system_sgpr_workgroup_id_z 0
		.amdhsa_system_sgpr_workgroup_info 0
		.amdhsa_system_vgpr_workitem_id 0
		.amdhsa_next_free_vgpr 13
		.amdhsa_next_free_sgpr 24
		.amdhsa_reserve_vcc 1
		.amdhsa_reserve_flat_scratch 0
		.amdhsa_float_round_mode_32 0
		.amdhsa_float_round_mode_16_64 0
		.amdhsa_float_denorm_mode_32 3
		.amdhsa_float_denorm_mode_16_64 3
		.amdhsa_dx10_clamp 1
		.amdhsa_ieee_mode 1
		.amdhsa_fp16_overflow 0
		.amdhsa_exception_fp_ieee_invalid_op 0
		.amdhsa_exception_fp_denorm_src 0
		.amdhsa_exception_fp_ieee_div_zero 0
		.amdhsa_exception_fp_ieee_overflow 0
		.amdhsa_exception_fp_ieee_underflow 0
		.amdhsa_exception_fp_ieee_inexact 0
		.amdhsa_exception_int_div_zero 0
	.end_amdhsa_kernel
	.section	.text._ZN7rocprim17ROCPRIM_304000_NS6detail33device_block_merge_oddeven_kernelINS1_37wrapped_merge_sort_block_merge_configINS0_14default_configEjN2at4cuda3cub6detail10OpaqueTypeILi8EEEEEPjSC_PSA_SD_jNS1_19radix_merge_compareILb0ELb1EjNS0_19identity_decomposerEEEEEvT0_T1_T2_T3_T4_SL_T5_,"axG",@progbits,_ZN7rocprim17ROCPRIM_304000_NS6detail33device_block_merge_oddeven_kernelINS1_37wrapped_merge_sort_block_merge_configINS0_14default_configEjN2at4cuda3cub6detail10OpaqueTypeILi8EEEEEPjSC_PSA_SD_jNS1_19radix_merge_compareILb0ELb1EjNS0_19identity_decomposerEEEEEvT0_T1_T2_T3_T4_SL_T5_,comdat
.Lfunc_end22:
	.size	_ZN7rocprim17ROCPRIM_304000_NS6detail33device_block_merge_oddeven_kernelINS1_37wrapped_merge_sort_block_merge_configINS0_14default_configEjN2at4cuda3cub6detail10OpaqueTypeILi8EEEEEPjSC_PSA_SD_jNS1_19radix_merge_compareILb0ELb1EjNS0_19identity_decomposerEEEEEvT0_T1_T2_T3_T4_SL_T5_, .Lfunc_end22-_ZN7rocprim17ROCPRIM_304000_NS6detail33device_block_merge_oddeven_kernelINS1_37wrapped_merge_sort_block_merge_configINS0_14default_configEjN2at4cuda3cub6detail10OpaqueTypeILi8EEEEEPjSC_PSA_SD_jNS1_19radix_merge_compareILb0ELb1EjNS0_19identity_decomposerEEEEEvT0_T1_T2_T3_T4_SL_T5_
                                        ; -- End function
	.set _ZN7rocprim17ROCPRIM_304000_NS6detail33device_block_merge_oddeven_kernelINS1_37wrapped_merge_sort_block_merge_configINS0_14default_configEjN2at4cuda3cub6detail10OpaqueTypeILi8EEEEEPjSC_PSA_SD_jNS1_19radix_merge_compareILb0ELb1EjNS0_19identity_decomposerEEEEEvT0_T1_T2_T3_T4_SL_T5_.num_vgpr, 13
	.set _ZN7rocprim17ROCPRIM_304000_NS6detail33device_block_merge_oddeven_kernelINS1_37wrapped_merge_sort_block_merge_configINS0_14default_configEjN2at4cuda3cub6detail10OpaqueTypeILi8EEEEEPjSC_PSA_SD_jNS1_19radix_merge_compareILb0ELb1EjNS0_19identity_decomposerEEEEEvT0_T1_T2_T3_T4_SL_T5_.num_agpr, 0
	.set _ZN7rocprim17ROCPRIM_304000_NS6detail33device_block_merge_oddeven_kernelINS1_37wrapped_merge_sort_block_merge_configINS0_14default_configEjN2at4cuda3cub6detail10OpaqueTypeILi8EEEEEPjSC_PSA_SD_jNS1_19radix_merge_compareILb0ELb1EjNS0_19identity_decomposerEEEEEvT0_T1_T2_T3_T4_SL_T5_.numbered_sgpr, 24
	.set _ZN7rocprim17ROCPRIM_304000_NS6detail33device_block_merge_oddeven_kernelINS1_37wrapped_merge_sort_block_merge_configINS0_14default_configEjN2at4cuda3cub6detail10OpaqueTypeILi8EEEEEPjSC_PSA_SD_jNS1_19radix_merge_compareILb0ELb1EjNS0_19identity_decomposerEEEEEvT0_T1_T2_T3_T4_SL_T5_.num_named_barrier, 0
	.set _ZN7rocprim17ROCPRIM_304000_NS6detail33device_block_merge_oddeven_kernelINS1_37wrapped_merge_sort_block_merge_configINS0_14default_configEjN2at4cuda3cub6detail10OpaqueTypeILi8EEEEEPjSC_PSA_SD_jNS1_19radix_merge_compareILb0ELb1EjNS0_19identity_decomposerEEEEEvT0_T1_T2_T3_T4_SL_T5_.private_seg_size, 0
	.set _ZN7rocprim17ROCPRIM_304000_NS6detail33device_block_merge_oddeven_kernelINS1_37wrapped_merge_sort_block_merge_configINS0_14default_configEjN2at4cuda3cub6detail10OpaqueTypeILi8EEEEEPjSC_PSA_SD_jNS1_19radix_merge_compareILb0ELb1EjNS0_19identity_decomposerEEEEEvT0_T1_T2_T3_T4_SL_T5_.uses_vcc, 1
	.set _ZN7rocprim17ROCPRIM_304000_NS6detail33device_block_merge_oddeven_kernelINS1_37wrapped_merge_sort_block_merge_configINS0_14default_configEjN2at4cuda3cub6detail10OpaqueTypeILi8EEEEEPjSC_PSA_SD_jNS1_19radix_merge_compareILb0ELb1EjNS0_19identity_decomposerEEEEEvT0_T1_T2_T3_T4_SL_T5_.uses_flat_scratch, 0
	.set _ZN7rocprim17ROCPRIM_304000_NS6detail33device_block_merge_oddeven_kernelINS1_37wrapped_merge_sort_block_merge_configINS0_14default_configEjN2at4cuda3cub6detail10OpaqueTypeILi8EEEEEPjSC_PSA_SD_jNS1_19radix_merge_compareILb0ELb1EjNS0_19identity_decomposerEEEEEvT0_T1_T2_T3_T4_SL_T5_.has_dyn_sized_stack, 0
	.set _ZN7rocprim17ROCPRIM_304000_NS6detail33device_block_merge_oddeven_kernelINS1_37wrapped_merge_sort_block_merge_configINS0_14default_configEjN2at4cuda3cub6detail10OpaqueTypeILi8EEEEEPjSC_PSA_SD_jNS1_19radix_merge_compareILb0ELb1EjNS0_19identity_decomposerEEEEEvT0_T1_T2_T3_T4_SL_T5_.has_recursion, 0
	.set _ZN7rocprim17ROCPRIM_304000_NS6detail33device_block_merge_oddeven_kernelINS1_37wrapped_merge_sort_block_merge_configINS0_14default_configEjN2at4cuda3cub6detail10OpaqueTypeILi8EEEEEPjSC_PSA_SD_jNS1_19radix_merge_compareILb0ELb1EjNS0_19identity_decomposerEEEEEvT0_T1_T2_T3_T4_SL_T5_.has_indirect_call, 0
	.section	.AMDGPU.csdata,"",@progbits
; Kernel info:
; codeLenInByte = 852
; TotalNumSgprs: 28
; NumVgprs: 13
; ScratchSize: 0
; MemoryBound: 0
; FloatMode: 240
; IeeeMode: 1
; LDSByteSize: 0 bytes/workgroup (compile time only)
; SGPRBlocks: 3
; VGPRBlocks: 3
; NumSGPRsForWavesPerEU: 28
; NumVGPRsForWavesPerEU: 13
; Occupancy: 10
; WaveLimiterHint : 0
; COMPUTE_PGM_RSRC2:SCRATCH_EN: 0
; COMPUTE_PGM_RSRC2:USER_SGPR: 6
; COMPUTE_PGM_RSRC2:TRAP_HANDLER: 0
; COMPUTE_PGM_RSRC2:TGID_X_EN: 1
; COMPUTE_PGM_RSRC2:TGID_Y_EN: 0
; COMPUTE_PGM_RSRC2:TGID_Z_EN: 0
; COMPUTE_PGM_RSRC2:TIDIG_COMP_CNT: 0
	.section	.text._ZN7rocprim17ROCPRIM_304000_NS6detail26onesweep_histograms_kernelINS1_34wrapped_radix_sort_onesweep_configINS0_14default_configEjN2at4cuda3cub6detail10OpaqueTypeILi8EEEEELb0EPKjmNS0_19identity_decomposerEEEvT1_PT2_SG_SG_T3_jj,"axG",@progbits,_ZN7rocprim17ROCPRIM_304000_NS6detail26onesweep_histograms_kernelINS1_34wrapped_radix_sort_onesweep_configINS0_14default_configEjN2at4cuda3cub6detail10OpaqueTypeILi8EEEEELb0EPKjmNS0_19identity_decomposerEEEvT1_PT2_SG_SG_T3_jj,comdat
	.protected	_ZN7rocprim17ROCPRIM_304000_NS6detail26onesweep_histograms_kernelINS1_34wrapped_radix_sort_onesweep_configINS0_14default_configEjN2at4cuda3cub6detail10OpaqueTypeILi8EEEEELb0EPKjmNS0_19identity_decomposerEEEvT1_PT2_SG_SG_T3_jj ; -- Begin function _ZN7rocprim17ROCPRIM_304000_NS6detail26onesweep_histograms_kernelINS1_34wrapped_radix_sort_onesweep_configINS0_14default_configEjN2at4cuda3cub6detail10OpaqueTypeILi8EEEEELb0EPKjmNS0_19identity_decomposerEEEvT1_PT2_SG_SG_T3_jj
	.globl	_ZN7rocprim17ROCPRIM_304000_NS6detail26onesweep_histograms_kernelINS1_34wrapped_radix_sort_onesweep_configINS0_14default_configEjN2at4cuda3cub6detail10OpaqueTypeILi8EEEEELb0EPKjmNS0_19identity_decomposerEEEvT1_PT2_SG_SG_T3_jj
	.p2align	8
	.type	_ZN7rocprim17ROCPRIM_304000_NS6detail26onesweep_histograms_kernelINS1_34wrapped_radix_sort_onesweep_configINS0_14default_configEjN2at4cuda3cub6detail10OpaqueTypeILi8EEEEELb0EPKjmNS0_19identity_decomposerEEEvT1_PT2_SG_SG_T3_jj,@function
_ZN7rocprim17ROCPRIM_304000_NS6detail26onesweep_histograms_kernelINS1_34wrapped_radix_sort_onesweep_configINS0_14default_configEjN2at4cuda3cub6detail10OpaqueTypeILi8EEEEELb0EPKjmNS0_19identity_decomposerEEEvT1_PT2_SG_SG_T3_jj: ; @_ZN7rocprim17ROCPRIM_304000_NS6detail26onesweep_histograms_kernelINS1_34wrapped_radix_sort_onesweep_configINS0_14default_configEjN2at4cuda3cub6detail10OpaqueTypeILi8EEEEELb0EPKjmNS0_19identity_decomposerEEEvT1_PT2_SG_SG_T3_jj
; %bb.0:
	s_load_dwordx8 s[24:31], s[4:5], 0x0
	s_load_dwordx2 s[34:35], s[4:5], 0x24
	v_mov_b32_e32 v1, s6
	v_mov_b32_e32 v2, 0
	s_mul_hi_u32 s0, s6, 0x3000
	s_waitcnt lgkmcnt(0)
	v_cmp_le_u64_e32 vcc, s[30:31], v[1:2]
	s_mulk_i32 s6, 0x3000
	s_add_u32 s24, s24, s6
	s_addc_u32 s25, s25, s0
	s_mov_b64 s[0:1], -1
	v_lshlrev_b32_e32 v3, 2, v0
	s_cbranch_vccz .LBB23_82
; %bb.1:
	s_mul_i32 s0, s30, 0xfffff400
	v_lshlrev_b32_e32 v16, 2, v0
	s_add_i32 s28, s0, s28
	v_mov_b32_e32 v2, s25
	v_add_co_u32_e32 v1, vcc, s24, v16
	v_addc_co_u32_e32 v2, vcc, 0, v2, vcc
	v_cmp_gt_u32_e64 s[22:23], s28, v0
                                        ; implicit-def: $vgpr15
	s_and_saveexec_b64 s[0:1], s[22:23]
	s_cbranch_execz .LBB23_3
; %bb.2:
	global_load_dword v15, v[1:2], off
.LBB23_3:
	s_or_b64 exec, exec, s[0:1]
	v_or_b32_e32 v4, 0x100, v0
	v_cmp_gt_u32_e64 s[20:21], s28, v4
                                        ; implicit-def: $vgpr14
	s_and_saveexec_b64 s[0:1], s[20:21]
	s_cbranch_execz .LBB23_5
; %bb.4:
	global_load_dword v14, v[1:2], off offset:1024
.LBB23_5:
	s_or_b64 exec, exec, s[0:1]
	v_or_b32_e32 v4, 0x200, v0
	v_cmp_gt_u32_e64 s[18:19], s28, v4
                                        ; implicit-def: $vgpr13
	s_and_saveexec_b64 s[0:1], s[18:19]
	s_cbranch_execz .LBB23_7
; %bb.6:
	global_load_dword v13, v[1:2], off offset:2048
.LBB23_7:
	s_or_b64 exec, exec, s[0:1]
	v_or_b32_e32 v4, 0x300, v0
	v_cmp_gt_u32_e64 s[16:17], s28, v4
                                        ; implicit-def: $vgpr12
	s_and_saveexec_b64 s[0:1], s[16:17]
	s_cbranch_execz .LBB23_9
; %bb.8:
	global_load_dword v12, v[1:2], off offset:3072
.LBB23_9:
	s_or_b64 exec, exec, s[0:1]
	v_or_b32_e32 v4, 0x400, v0
	v_cmp_gt_u32_e64 s[14:15], s28, v4
                                        ; implicit-def: $vgpr11
	s_and_saveexec_b64 s[0:1], s[14:15]
	s_cbranch_execz .LBB23_11
; %bb.10:
	v_add_co_u32_e32 v4, vcc, 0x1000, v1
	v_addc_co_u32_e32 v5, vcc, 0, v2, vcc
	global_load_dword v11, v[4:5], off
.LBB23_11:
	s_or_b64 exec, exec, s[0:1]
	v_or_b32_e32 v4, 0x500, v0
	v_cmp_gt_u32_e64 s[12:13], s28, v4
                                        ; implicit-def: $vgpr10
	s_and_saveexec_b64 s[0:1], s[12:13]
	s_cbranch_execz .LBB23_13
; %bb.12:
	v_add_co_u32_e32 v4, vcc, 0x1000, v1
	v_addc_co_u32_e32 v5, vcc, 0, v2, vcc
	global_load_dword v10, v[4:5], off offset:1024
.LBB23_13:
	s_or_b64 exec, exec, s[0:1]
	v_or_b32_e32 v4, 0x600, v0
	v_cmp_gt_u32_e64 s[10:11], s28, v4
                                        ; implicit-def: $vgpr9
	s_and_saveexec_b64 s[0:1], s[10:11]
	s_cbranch_execz .LBB23_15
; %bb.14:
	v_add_co_u32_e32 v4, vcc, 0x1000, v1
	v_addc_co_u32_e32 v5, vcc, 0, v2, vcc
	global_load_dword v9, v[4:5], off offset:2048
.LBB23_15:
	s_or_b64 exec, exec, s[0:1]
	v_or_b32_e32 v4, 0x700, v0
	v_cmp_gt_u32_e64 s[8:9], s28, v4
                                        ; implicit-def: $vgpr8
	s_and_saveexec_b64 s[0:1], s[8:9]
	s_cbranch_execz .LBB23_17
; %bb.16:
	v_add_co_u32_e32 v4, vcc, 0x1000, v1
	v_addc_co_u32_e32 v5, vcc, 0, v2, vcc
	global_load_dword v8, v[4:5], off offset:3072
.LBB23_17:
	s_or_b64 exec, exec, s[0:1]
	v_or_b32_e32 v4, 0x800, v0
	v_cmp_gt_u32_e64 s[6:7], s28, v4
                                        ; implicit-def: $vgpr7
	s_and_saveexec_b64 s[0:1], s[6:7]
	s_cbranch_execz .LBB23_19
; %bb.18:
	v_add_co_u32_e32 v4, vcc, 0x2000, v1
	v_addc_co_u32_e32 v5, vcc, 0, v2, vcc
	global_load_dword v7, v[4:5], off
.LBB23_19:
	s_or_b64 exec, exec, s[0:1]
	v_or_b32_e32 v4, 0x900, v0
	v_cmp_gt_u32_e64 s[4:5], s28, v4
                                        ; implicit-def: $vgpr6
	s_and_saveexec_b64 s[0:1], s[4:5]
	s_cbranch_execz .LBB23_21
; %bb.20:
	v_add_co_u32_e32 v4, vcc, 0x2000, v1
	v_addc_co_u32_e32 v5, vcc, 0, v2, vcc
	global_load_dword v6, v[4:5], off offset:1024
.LBB23_21:
	s_or_b64 exec, exec, s[0:1]
	v_or_b32_e32 v4, 0xa00, v0
	v_cmp_gt_u32_e64 s[2:3], s28, v4
                                        ; implicit-def: $vgpr5
	s_and_saveexec_b64 s[0:1], s[2:3]
	s_cbranch_execz .LBB23_23
; %bb.22:
	v_add_co_u32_e32 v4, vcc, 0x2000, v1
	v_addc_co_u32_e32 v5, vcc, 0, v2, vcc
	global_load_dword v5, v[4:5], off offset:2048
.LBB23_23:
	s_or_b64 exec, exec, s[0:1]
	v_or_b32_e32 v4, 0xb00, v0
	v_cmp_gt_u32_e64 s[0:1], s28, v4
                                        ; implicit-def: $vgpr4
	s_and_saveexec_b64 s[28:29], s[0:1]
	s_cbranch_execz .LBB23_25
; %bb.24:
	v_add_co_u32_e32 v1, vcc, 0x2000, v1
	v_addc_co_u32_e32 v2, vcc, 0, v2, vcc
	global_load_dword v4, v[1:2], off offset:3072
.LBB23_25:
	s_or_b64 exec, exec, s[28:29]
	v_or_b32_e32 v1, 0xffffff00, v0
	s_mov_b64 s[28:29], 0
	v_mov_b32_e32 v2, 0
	s_movk_i32 s30, 0xeff
.LBB23_26:                              ; =>This Inner Loop Header: Depth=1
	v_add_u32_e32 v1, 0x100, v1
	v_cmp_lt_u32_e32 vcc, s30, v1
	ds_write_b32 v16, v2
	s_or_b64 s[28:29], vcc, s[28:29]
	v_add_u32_e32 v16, 0x400, v16
	s_andn2_b64 exec, exec, s[28:29]
	s_cbranch_execnz .LBB23_26
; %bb.27:
	s_or_b64 exec, exec, s[28:29]
	s_cmp_gt_u32 s35, s34
	s_cselect_b64 s[28:29], -1, 0
	s_cmp_le_u32 s35, s34
	s_waitcnt vmcnt(0) lgkmcnt(0)
	s_barrier
	s_cbranch_scc1 .LBB23_76
; %bb.28:
	v_and_b32_e32 v1, 3, v0
	v_lshlrev_b32_e32 v1, 2, v1
	s_sub_i32 s33, s35, s34
	v_mov_b32_e32 v2, 1
	s_mov_b32 s36, s33
	v_mov_b32_e32 v16, v1
	s_mov_b32 s37, s34
	s_branch .LBB23_30
.LBB23_29:                              ;   in Loop: Header=BB23_30 Depth=1
	s_or_b64 exec, exec, s[30:31]
	s_add_i32 s37, s37, 8
	s_add_i32 s36, s36, -8
	s_cmp_lt_u32 s37, s35
	v_add_u32_e32 v16, 0x1000, v16
	s_cbranch_scc0 .LBB23_32
.LBB23_30:                              ; =>This Inner Loop Header: Depth=1
	s_and_saveexec_b64 s[30:31], s[22:23]
	s_cbranch_execz .LBB23_29
; %bb.31:                               ;   in Loop: Header=BB23_30 Depth=1
	s_min_u32 s38, s36, 8
	v_lshrrev_b32_e32 v17, s37, v15
	v_bfe_u32 v17, v17, 0, s38
	v_lshl_add_u32 v17, v17, 4, v16
	ds_add_u32 v17, v2
	s_branch .LBB23_29
.LBB23_32:
	v_mov_b32_e32 v2, 1
	s_mov_b32 s30, s33
	v_mov_b32_e32 v15, v1
	s_mov_b32 s31, s34
	s_branch .LBB23_34
.LBB23_33:                              ;   in Loop: Header=BB23_34 Depth=1
	s_or_b64 exec, exec, s[22:23]
	s_add_i32 s31, s31, 8
	s_add_i32 s30, s30, -8
	s_cmp_lt_u32 s31, s35
	v_add_u32_e32 v15, 0x1000, v15
	s_cbranch_scc0 .LBB23_36
.LBB23_34:                              ; =>This Inner Loop Header: Depth=1
	s_and_saveexec_b64 s[22:23], s[20:21]
	s_cbranch_execz .LBB23_33
; %bb.35:                               ;   in Loop: Header=BB23_34 Depth=1
	s_min_u32 s36, s30, 8
	v_lshrrev_b32_e32 v16, s31, v14
	v_bfe_u32 v16, v16, 0, s36
	v_lshl_add_u32 v16, v16, 4, v15
	ds_add_u32 v16, v2
	s_branch .LBB23_33
.LBB23_36:
	;; [unrolled: 23-line block ×11, first 2 shown]
	v_mov_b32_e32 v2, 1
	s_mov_b32 s4, s34
	s_branch .LBB23_74
.LBB23_73:                              ;   in Loop: Header=BB23_74 Depth=1
	s_or_b64 exec, exec, s[2:3]
	s_add_i32 s4, s4, 8
	s_add_i32 s33, s33, -8
	s_cmp_lt_u32 s4, s35
	v_add_u32_e32 v1, 0x1000, v1
	s_cbranch_scc0 .LBB23_76
.LBB23_74:                              ; =>This Inner Loop Header: Depth=1
	s_and_saveexec_b64 s[2:3], s[0:1]
	s_cbranch_execz .LBB23_73
; %bb.75:                               ;   in Loop: Header=BB23_74 Depth=1
	s_min_u32 s5, s33, 8
	v_lshrrev_b32_e32 v5, s4, v4
	v_bfe_u32 v5, v5, 0, s5
	v_lshl_add_u32 v5, v5, 4, v1
	ds_add_u32 v5, v2
	s_branch .LBB23_73
.LBB23_76:
	s_and_b64 vcc, exec, s[28:29]
	s_waitcnt lgkmcnt(0)
	s_barrier
	s_cbranch_vccz .LBB23_81
; %bb.77:
	s_movk_i32 s0, 0x100
	v_cmp_gt_u32_e32 vcc, s0, v0
	v_lshlrev_b32_e32 v4, 4, v0
	v_mov_b32_e32 v2, 0
	v_mov_b32_e32 v1, v0
	s_mov_b32 s4, s34
	s_branch .LBB23_79
.LBB23_78:                              ;   in Loop: Header=BB23_79 Depth=1
	s_or_b64 exec, exec, s[2:3]
	s_add_i32 s4, s4, 8
	v_add_u32_e32 v1, 0x100, v1
	s_cmp_lt_u32 s4, s35
	v_add_u32_e32 v4, 0x1000, v4
	s_cbranch_scc0 .LBB23_81
.LBB23_79:                              ; =>This Inner Loop Header: Depth=1
	s_and_saveexec_b64 s[2:3], vcc
	s_cbranch_execz .LBB23_78
; %bb.80:                               ;   in Loop: Header=BB23_79 Depth=1
	ds_read2_b32 v[5:6], v4 offset1:1
	ds_read2_b32 v[7:8], v4 offset0:2 offset1:3
	v_lshlrev_b64 v[9:10], 3, v[1:2]
	v_mov_b32_e32 v11, s27
	s_waitcnt lgkmcnt(1)
	v_add_u32_e32 v5, v6, v5
	s_waitcnt lgkmcnt(0)
	v_add3_u32 v5, v5, v7, v8
	v_add_co_u32_e64 v7, s[0:1], s26, v9
	v_addc_co_u32_e64 v8, s[0:1], v11, v10, s[0:1]
	v_mov_b32_e32 v6, v2
	global_atomic_add_x2 v[7:8], v[5:6], off
	s_branch .LBB23_78
.LBB23_81:
	s_mov_b64 s[0:1], 0
.LBB23_82:
	s_and_b64 vcc, exec, s[0:1]
	s_cbranch_vccz .LBB23_122
; %bb.83:
	v_mov_b32_e32 v1, s25
	v_add_co_u32_e32 v4, vcc, s24, v3
	v_addc_co_u32_e32 v5, vcc, 0, v1, vcc
	v_add_co_u32_e32 v1, vcc, 0x1000, v4
	v_addc_co_u32_e32 v2, vcc, 0, v5, vcc
	v_add_co_u32_e32 v16, vcc, 0x2000, v4
	global_load_dword v15, v3, s[24:25]
	global_load_dword v14, v3, s[24:25] offset:1024
	global_load_dword v13, v3, s[24:25] offset:2048
	;; [unrolled: 1-line block ×3, first 2 shown]
	v_addc_co_u32_e32 v17, vcc, 0, v5, vcc
	global_load_dword v12, v[1:2], off
	global_load_dword v10, v[1:2], off offset:1024
	global_load_dword v9, v[1:2], off offset:2048
	;; [unrolled: 1-line block ×3, first 2 shown]
	global_load_dword v7, v[16:17], off
	global_load_dword v6, v[16:17], off offset:1024
	global_load_dword v5, v[16:17], off offset:2048
	;; [unrolled: 1-line block ×3, first 2 shown]
	s_cmp_eq_u32 s34, 0
	s_cselect_b64 s[0:1], -1, 0
	s_cmp_eq_u32 s35, 32
	s_cselect_b64 s[2:3], -1, 0
	s_and_b64 s[2:3], s[0:1], s[2:3]
	v_mov_b32_e32 v1, 0
	s_mov_b64 s[0:1], -1
	s_and_b64 vcc, exec, s[2:3]
	s_cbranch_vccnz .LBB23_117
; %bb.84:
	v_or_b32_e32 v2, 0xffffff00, v0
	s_mov_b64 s[0:1], 0
	s_movk_i32 s2, 0xeff
.LBB23_85:                              ; =>This Inner Loop Header: Depth=1
	v_add_u32_e32 v2, 0x100, v2
	v_cmp_lt_u32_e32 vcc, s2, v2
	ds_write_b32 v3, v1
	s_or_b64 s[0:1], vcc, s[0:1]
	v_add_u32_e32 v3, 0x400, v3
	s_andn2_b64 exec, exec, s[0:1]
	s_cbranch_execnz .LBB23_85
; %bb.86:
	s_or_b64 exec, exec, s[0:1]
	s_cmp_gt_u32 s35, s34
	s_cselect_b64 s[0:1], -1, 0
	s_cmp_le_u32 s35, s34
	s_waitcnt vmcnt(0) lgkmcnt(0)
	s_barrier
	s_cbranch_scc1 .LBB23_111
; %bb.87:
	v_and_b32_e32 v1, 3, v0
	v_lshlrev_b32_e32 v1, 2, v1
	s_sub_i32 s2, s35, s34
	v_mov_b32_e32 v2, 1
	s_mov_b32 s3, s2
	v_mov_b32_e32 v3, v1
	s_mov_b32 s4, s34
.LBB23_88:                              ; =>This Inner Loop Header: Depth=1
	s_min_u32 s5, s3, 8
	v_lshrrev_b32_e32 v16, s4, v15
	v_bfe_u32 v16, v16, 0, s5
	v_lshl_add_u32 v16, v16, 4, v3
	ds_add_u32 v16, v2
	s_add_i32 s4, s4, 8
	s_add_i32 s3, s3, -8
	s_cmp_lt_u32 s4, s35
	v_add_u32_e32 v3, 0x1000, v3
	s_cbranch_scc1 .LBB23_88
; %bb.89:
	v_mov_b32_e32 v2, 1
	s_mov_b32 s3, s2
	v_mov_b32_e32 v3, v1
	s_mov_b32 s4, s34
.LBB23_90:                              ; =>This Inner Loop Header: Depth=1
	s_min_u32 s5, s3, 8
	v_lshrrev_b32_e32 v16, s4, v14
	v_bfe_u32 v16, v16, 0, s5
	v_lshl_add_u32 v16, v16, 4, v3
	ds_add_u32 v16, v2
	s_add_i32 s4, s4, 8
	s_add_i32 s3, s3, -8
	s_cmp_lt_u32 s4, s35
	v_add_u32_e32 v3, 0x1000, v3
	s_cbranch_scc1 .LBB23_90
; %bb.91:
	;; [unrolled: 16-line block ×6, first 2 shown]
	v_mov_b32_e32 v2, 1
	s_mov_b32 s3, s2
	v_mov_b32_e32 v3, v1
	s_mov_b32 s4, s34
.LBB23_100:                             ; =>This Inner Loop Header: Depth=1
	s_min_u32 s5, s3, 8
	v_lshrrev_b32_e32 v16, s4, v9
	v_bfe_u32 v16, v16, 0, s5
	v_lshl_add_u32 v16, v16, 4, v3
	ds_add_u32 v16, v2
	s_add_i32 s4, s4, 8
	s_add_i32 s3, s3, -8
	s_cmp_lt_u32 s4, s35
	v_add_u32_e32 v3, 0x1000, v3
	s_cbranch_scc1 .LBB23_100
; %bb.101:
	v_mov_b32_e32 v2, 1
	s_mov_b32 s3, s2
	v_mov_b32_e32 v3, v1
	s_mov_b32 s4, s34
.LBB23_102:                             ; =>This Inner Loop Header: Depth=1
	s_min_u32 s5, s3, 8
	v_lshrrev_b32_e32 v16, s4, v8
	v_bfe_u32 v16, v16, 0, s5
	v_lshl_add_u32 v16, v16, 4, v3
	ds_add_u32 v16, v2
	s_add_i32 s4, s4, 8
	s_add_i32 s3, s3, -8
	s_cmp_lt_u32 s4, s35
	v_add_u32_e32 v3, 0x1000, v3
	s_cbranch_scc1 .LBB23_102
; %bb.103:
	;; [unrolled: 16-line block ×5, first 2 shown]
	v_mov_b32_e32 v2, 1
	s_mov_b32 s3, s34
.LBB23_110:                             ; =>This Inner Loop Header: Depth=1
	s_min_u32 s4, s2, 8
	v_lshrrev_b32_e32 v3, s3, v4
	v_bfe_u32 v3, v3, 0, s4
	v_lshl_add_u32 v3, v3, 4, v1
	ds_add_u32 v3, v2
	s_add_i32 s3, s3, 8
	s_add_i32 s2, s2, -8
	s_cmp_lt_u32 s3, s35
	v_add_u32_e32 v1, 0x1000, v1
	s_cbranch_scc1 .LBB23_110
.LBB23_111:
	s_and_b64 vcc, exec, s[0:1]
	s_waitcnt lgkmcnt(0)
	s_barrier
	s_cbranch_vccz .LBB23_116
; %bb.112:
	s_movk_i32 s0, 0x100
	v_cmp_gt_u32_e32 vcc, s0, v0
	v_lshlrev_b32_e32 v3, 4, v0
	v_mov_b32_e32 v2, 0
	v_mov_b32_e32 v1, v0
	s_branch .LBB23_114
.LBB23_113:                             ;   in Loop: Header=BB23_114 Depth=1
	s_or_b64 exec, exec, s[2:3]
	s_add_i32 s34, s34, 8
	v_add_u32_e32 v1, 0x100, v1
	s_cmp_ge_u32 s34, s35
	v_add_u32_e32 v3, 0x1000, v3
	s_cbranch_scc1 .LBB23_116
.LBB23_114:                             ; =>This Inner Loop Header: Depth=1
	s_and_saveexec_b64 s[2:3], vcc
	s_cbranch_execz .LBB23_113
; %bb.115:                              ;   in Loop: Header=BB23_114 Depth=1
	ds_read2_b32 v[16:17], v3 offset1:1
	ds_read2_b32 v[18:19], v3 offset0:2 offset1:3
	v_lshlrev_b64 v[20:21], 3, v[1:2]
	v_mov_b32_e32 v22, s27
	s_waitcnt lgkmcnt(1)
	v_add_u32_e32 v16, v17, v16
	s_waitcnt lgkmcnt(0)
	v_add3_u32 v16, v16, v18, v19
	v_add_co_u32_e64 v18, s[0:1], s26, v20
	v_addc_co_u32_e64 v19, s[0:1], v22, v21, s[0:1]
	v_mov_b32_e32 v17, v2
	global_atomic_add_x2 v[18:19], v[16:17], off
	s_branch .LBB23_113
.LBB23_116:
	s_mov_b64 s[0:1], 0
.LBB23_117:
	s_and_b64 vcc, exec, s[0:1]
	s_cbranch_vccz .LBB23_122
; %bb.118:
	v_or_b32_e32 v1, 0xffffff00, v0
	v_lshlrev_b32_e32 v2, 2, v0
	s_mov_b64 s[0:1], 0
	v_mov_b32_e32 v3, 0
	s_movk_i32 s2, 0xeff
.LBB23_119:                             ; =>This Inner Loop Header: Depth=1
	v_add_u32_e32 v1, 0x100, v1
	v_cmp_lt_u32_e32 vcc, s2, v1
	ds_write_b32 v2, v3
	s_or_b64 s[0:1], vcc, s[0:1]
	v_add_u32_e32 v2, 0x400, v2
	s_andn2_b64 exec, exec, s[0:1]
	s_cbranch_execnz .LBB23_119
; %bb.120:
	s_or_b64 exec, exec, s[0:1]
	v_and_b32_e32 v1, 3, v0
	s_waitcnt vmcnt(11)
	v_lshlrev_b32_e32 v2, 4, v15
	v_lshlrev_b32_e32 v1, 2, v1
	s_movk_i32 s0, 0xff0
	v_and_or_b32 v2, v2, s0, v1
	v_mov_b32_e32 v3, 1
	s_waitcnt vmcnt(0) lgkmcnt(0)
	s_barrier
	ds_add_u32 v2, v3
	v_bfe_u32 v2, v15, 8, 8
	v_lshl_or_b32 v2, v2, 4, v1
	ds_add_u32 v2, v3 offset:4096
	v_bfe_u32 v2, v15, 16, 8
	v_lshl_or_b32 v2, v2, 4, v1
	ds_add_u32 v2, v3 offset:8192
	v_lshrrev_b32_e32 v2, 24, v15
	v_lshl_or_b32 v2, v2, 4, v1
	ds_add_u32 v2, v3 offset:12288
	v_lshlrev_b32_e32 v2, 4, v14
	v_and_or_b32 v2, v2, s0, v1
	ds_add_u32 v2, v3
	v_bfe_u32 v2, v14, 8, 8
	v_lshl_or_b32 v2, v2, 4, v1
	ds_add_u32 v2, v3 offset:4096
	v_bfe_u32 v2, v14, 16, 8
	v_lshl_or_b32 v2, v2, 4, v1
	ds_add_u32 v2, v3 offset:8192
	v_lshrrev_b32_e32 v2, 24, v14
	v_lshl_or_b32 v2, v2, 4, v1
	ds_add_u32 v2, v3 offset:12288
	v_lshlrev_b32_e32 v2, 4, v13
	v_and_or_b32 v2, v2, s0, v1
	;; [unrolled: 12-line block ×11, first 2 shown]
	ds_add_u32 v2, v3
	v_bfe_u32 v2, v4, 8, 8
	v_lshl_or_b32 v2, v2, 4, v1
	ds_add_u32 v2, v3 offset:4096
	v_bfe_u32 v2, v4, 16, 8
	v_lshl_or_b32 v2, v2, 4, v1
	ds_add_u32 v2, v3 offset:8192
	v_lshrrev_b32_e32 v2, 24, v4
	v_lshl_or_b32 v1, v2, 4, v1
	ds_add_u32 v1, v3 offset:12288
	s_movk_i32 s0, 0x100
	v_cmp_gt_u32_e32 vcc, s0, v0
	s_waitcnt lgkmcnt(0)
	s_barrier
	s_and_saveexec_b64 s[0:1], vcc
	s_cbranch_execz .LBB23_122
; %bb.121:
	v_lshlrev_b32_e32 v6, 4, v0
	ds_read2_b32 v[1:2], v6 offset1:1
	ds_read2_b32 v[3:4], v6 offset0:2 offset1:3
	v_lshlrev_b32_e32 v7, 3, v0
	v_mov_b32_e32 v5, 0
	v_or_b32_e32 v0, 0x1000, v6
	s_waitcnt lgkmcnt(1)
	v_add_u32_e32 v1, v2, v1
	s_waitcnt lgkmcnt(0)
	v_add3_u32 v4, v1, v3, v4
	global_atomic_add_x2 v7, v[4:5], s[26:27]
	v_or_b32_e32 v2, 0x1008, v6
	ds_read2_b32 v[0:1], v0 offset1:1
	ds_read2_b32 v[2:3], v2 offset1:1
	v_or_b32_e32 v9, 0x2000, v6
	v_mov_b32_e32 v8, s27
	s_movk_i32 s0, 0x1000
	s_waitcnt lgkmcnt(1)
	v_add_u32_e32 v0, v1, v0
	s_waitcnt lgkmcnt(0)
	v_add3_u32 v4, v0, v2, v3
	global_atomic_add_x2 v7, v[4:5], s[26:27] offset:2048
	v_or_b32_e32 v2, 0x2008, v6
	ds_read2_b32 v[0:1], v9 offset1:1
	ds_read2_b32 v[2:3], v2 offset1:1
	v_add_co_u32_e32 v7, vcc, s26, v7
	v_addc_co_u32_e32 v8, vcc, 0, v8, vcc
	s_waitcnt lgkmcnt(1)
	v_add_u32_e32 v0, v1, v0
	s_waitcnt lgkmcnt(0)
	v_add3_u32 v4, v0, v2, v3
	v_add_co_u32_e32 v0, vcc, s0, v7
	v_addc_co_u32_e32 v1, vcc, 0, v8, vcc
	global_atomic_add_x2 v[0:1], v[4:5], off
	v_or_b32_e32 v2, 0x3000, v6
	v_or_b32_e32 v4, 0x3008, v6
	ds_read2_b32 v[2:3], v2 offset1:1
	ds_read2_b32 v[6:7], v4 offset1:1
	s_waitcnt lgkmcnt(1)
	v_add_u32_e32 v2, v3, v2
	s_waitcnt lgkmcnt(0)
	v_add3_u32 v4, v2, v6, v7
	global_atomic_add_x2 v[0:1], v[4:5], off offset:2048
.LBB23_122:
	s_endpgm
	.section	.rodata,"a",@progbits
	.p2align	6, 0x0
	.amdhsa_kernel _ZN7rocprim17ROCPRIM_304000_NS6detail26onesweep_histograms_kernelINS1_34wrapped_radix_sort_onesweep_configINS0_14default_configEjN2at4cuda3cub6detail10OpaqueTypeILi8EEEEELb0EPKjmNS0_19identity_decomposerEEEvT1_PT2_SG_SG_T3_jj
		.amdhsa_group_segment_fixed_size 16384
		.amdhsa_private_segment_fixed_size 0
		.amdhsa_kernarg_size 44
		.amdhsa_user_sgpr_count 6
		.amdhsa_user_sgpr_private_segment_buffer 1
		.amdhsa_user_sgpr_dispatch_ptr 0
		.amdhsa_user_sgpr_queue_ptr 0
		.amdhsa_user_sgpr_kernarg_segment_ptr 1
		.amdhsa_user_sgpr_dispatch_id 0
		.amdhsa_user_sgpr_flat_scratch_init 0
		.amdhsa_user_sgpr_private_segment_size 0
		.amdhsa_uses_dynamic_stack 0
		.amdhsa_system_sgpr_private_segment_wavefront_offset 0
		.amdhsa_system_sgpr_workgroup_id_x 1
		.amdhsa_system_sgpr_workgroup_id_y 0
		.amdhsa_system_sgpr_workgroup_id_z 0
		.amdhsa_system_sgpr_workgroup_info 0
		.amdhsa_system_vgpr_workitem_id 0
		.amdhsa_next_free_vgpr 49
		.amdhsa_next_free_sgpr 98
		.amdhsa_reserve_vcc 1
		.amdhsa_reserve_flat_scratch 0
		.amdhsa_float_round_mode_32 0
		.amdhsa_float_round_mode_16_64 0
		.amdhsa_float_denorm_mode_32 3
		.amdhsa_float_denorm_mode_16_64 3
		.amdhsa_dx10_clamp 1
		.amdhsa_ieee_mode 1
		.amdhsa_fp16_overflow 0
		.amdhsa_exception_fp_ieee_invalid_op 0
		.amdhsa_exception_fp_denorm_src 0
		.amdhsa_exception_fp_ieee_div_zero 0
		.amdhsa_exception_fp_ieee_overflow 0
		.amdhsa_exception_fp_ieee_underflow 0
		.amdhsa_exception_fp_ieee_inexact 0
		.amdhsa_exception_int_div_zero 0
	.end_amdhsa_kernel
	.section	.text._ZN7rocprim17ROCPRIM_304000_NS6detail26onesweep_histograms_kernelINS1_34wrapped_radix_sort_onesweep_configINS0_14default_configEjN2at4cuda3cub6detail10OpaqueTypeILi8EEEEELb0EPKjmNS0_19identity_decomposerEEEvT1_PT2_SG_SG_T3_jj,"axG",@progbits,_ZN7rocprim17ROCPRIM_304000_NS6detail26onesweep_histograms_kernelINS1_34wrapped_radix_sort_onesweep_configINS0_14default_configEjN2at4cuda3cub6detail10OpaqueTypeILi8EEEEELb0EPKjmNS0_19identity_decomposerEEEvT1_PT2_SG_SG_T3_jj,comdat
.Lfunc_end23:
	.size	_ZN7rocprim17ROCPRIM_304000_NS6detail26onesweep_histograms_kernelINS1_34wrapped_radix_sort_onesweep_configINS0_14default_configEjN2at4cuda3cub6detail10OpaqueTypeILi8EEEEELb0EPKjmNS0_19identity_decomposerEEEvT1_PT2_SG_SG_T3_jj, .Lfunc_end23-_ZN7rocprim17ROCPRIM_304000_NS6detail26onesweep_histograms_kernelINS1_34wrapped_radix_sort_onesweep_configINS0_14default_configEjN2at4cuda3cub6detail10OpaqueTypeILi8EEEEELb0EPKjmNS0_19identity_decomposerEEEvT1_PT2_SG_SG_T3_jj
                                        ; -- End function
	.set _ZN7rocprim17ROCPRIM_304000_NS6detail26onesweep_histograms_kernelINS1_34wrapped_radix_sort_onesweep_configINS0_14default_configEjN2at4cuda3cub6detail10OpaqueTypeILi8EEEEELb0EPKjmNS0_19identity_decomposerEEEvT1_PT2_SG_SG_T3_jj.num_vgpr, 23
	.set _ZN7rocprim17ROCPRIM_304000_NS6detail26onesweep_histograms_kernelINS1_34wrapped_radix_sort_onesweep_configINS0_14default_configEjN2at4cuda3cub6detail10OpaqueTypeILi8EEEEELb0EPKjmNS0_19identity_decomposerEEEvT1_PT2_SG_SG_T3_jj.num_agpr, 0
	.set _ZN7rocprim17ROCPRIM_304000_NS6detail26onesweep_histograms_kernelINS1_34wrapped_radix_sort_onesweep_configINS0_14default_configEjN2at4cuda3cub6detail10OpaqueTypeILi8EEEEELb0EPKjmNS0_19identity_decomposerEEEvT1_PT2_SG_SG_T3_jj.numbered_sgpr, 39
	.set _ZN7rocprim17ROCPRIM_304000_NS6detail26onesweep_histograms_kernelINS1_34wrapped_radix_sort_onesweep_configINS0_14default_configEjN2at4cuda3cub6detail10OpaqueTypeILi8EEEEELb0EPKjmNS0_19identity_decomposerEEEvT1_PT2_SG_SG_T3_jj.num_named_barrier, 0
	.set _ZN7rocprim17ROCPRIM_304000_NS6detail26onesweep_histograms_kernelINS1_34wrapped_radix_sort_onesweep_configINS0_14default_configEjN2at4cuda3cub6detail10OpaqueTypeILi8EEEEELb0EPKjmNS0_19identity_decomposerEEEvT1_PT2_SG_SG_T3_jj.private_seg_size, 0
	.set _ZN7rocprim17ROCPRIM_304000_NS6detail26onesweep_histograms_kernelINS1_34wrapped_radix_sort_onesweep_configINS0_14default_configEjN2at4cuda3cub6detail10OpaqueTypeILi8EEEEELb0EPKjmNS0_19identity_decomposerEEEvT1_PT2_SG_SG_T3_jj.uses_vcc, 1
	.set _ZN7rocprim17ROCPRIM_304000_NS6detail26onesweep_histograms_kernelINS1_34wrapped_radix_sort_onesweep_configINS0_14default_configEjN2at4cuda3cub6detail10OpaqueTypeILi8EEEEELb0EPKjmNS0_19identity_decomposerEEEvT1_PT2_SG_SG_T3_jj.uses_flat_scratch, 0
	.set _ZN7rocprim17ROCPRIM_304000_NS6detail26onesweep_histograms_kernelINS1_34wrapped_radix_sort_onesweep_configINS0_14default_configEjN2at4cuda3cub6detail10OpaqueTypeILi8EEEEELb0EPKjmNS0_19identity_decomposerEEEvT1_PT2_SG_SG_T3_jj.has_dyn_sized_stack, 0
	.set _ZN7rocprim17ROCPRIM_304000_NS6detail26onesweep_histograms_kernelINS1_34wrapped_radix_sort_onesweep_configINS0_14default_configEjN2at4cuda3cub6detail10OpaqueTypeILi8EEEEELb0EPKjmNS0_19identity_decomposerEEEvT1_PT2_SG_SG_T3_jj.has_recursion, 0
	.set _ZN7rocprim17ROCPRIM_304000_NS6detail26onesweep_histograms_kernelINS1_34wrapped_radix_sort_onesweep_configINS0_14default_configEjN2at4cuda3cub6detail10OpaqueTypeILi8EEEEELb0EPKjmNS0_19identity_decomposerEEEvT1_PT2_SG_SG_T3_jj.has_indirect_call, 0
	.section	.AMDGPU.csdata,"",@progbits
; Kernel info:
; codeLenInByte = 4716
; TotalNumSgprs: 43
; NumVgprs: 23
; ScratchSize: 0
; MemoryBound: 0
; FloatMode: 240
; IeeeMode: 1
; LDSByteSize: 16384 bytes/workgroup (compile time only)
; SGPRBlocks: 12
; VGPRBlocks: 12
; NumSGPRsForWavesPerEU: 102
; NumVGPRsForWavesPerEU: 49
; Occupancy: 4
; WaveLimiterHint : 1
; COMPUTE_PGM_RSRC2:SCRATCH_EN: 0
; COMPUTE_PGM_RSRC2:USER_SGPR: 6
; COMPUTE_PGM_RSRC2:TRAP_HANDLER: 0
; COMPUTE_PGM_RSRC2:TGID_X_EN: 1
; COMPUTE_PGM_RSRC2:TGID_Y_EN: 0
; COMPUTE_PGM_RSRC2:TGID_Z_EN: 0
; COMPUTE_PGM_RSRC2:TIDIG_COMP_CNT: 0
	.section	.text._ZN7rocprim17ROCPRIM_304000_NS6detail25onesweep_iteration_kernelINS1_34wrapped_radix_sort_onesweep_configINS0_14default_configEjN2at4cuda3cub6detail10OpaqueTypeILi8EEEEELb0EPKjPjPKSA_PSA_mNS0_19identity_decomposerEEEvT1_T2_T3_T4_jPT5_SO_PNS1_23onesweep_lookback_stateET6_jjj,"axG",@progbits,_ZN7rocprim17ROCPRIM_304000_NS6detail25onesweep_iteration_kernelINS1_34wrapped_radix_sort_onesweep_configINS0_14default_configEjN2at4cuda3cub6detail10OpaqueTypeILi8EEEEELb0EPKjPjPKSA_PSA_mNS0_19identity_decomposerEEEvT1_T2_T3_T4_jPT5_SO_PNS1_23onesweep_lookback_stateET6_jjj,comdat
	.protected	_ZN7rocprim17ROCPRIM_304000_NS6detail25onesweep_iteration_kernelINS1_34wrapped_radix_sort_onesweep_configINS0_14default_configEjN2at4cuda3cub6detail10OpaqueTypeILi8EEEEELb0EPKjPjPKSA_PSA_mNS0_19identity_decomposerEEEvT1_T2_T3_T4_jPT5_SO_PNS1_23onesweep_lookback_stateET6_jjj ; -- Begin function _ZN7rocprim17ROCPRIM_304000_NS6detail25onesweep_iteration_kernelINS1_34wrapped_radix_sort_onesweep_configINS0_14default_configEjN2at4cuda3cub6detail10OpaqueTypeILi8EEEEELb0EPKjPjPKSA_PSA_mNS0_19identity_decomposerEEEvT1_T2_T3_T4_jPT5_SO_PNS1_23onesweep_lookback_stateET6_jjj
	.globl	_ZN7rocprim17ROCPRIM_304000_NS6detail25onesweep_iteration_kernelINS1_34wrapped_radix_sort_onesweep_configINS0_14default_configEjN2at4cuda3cub6detail10OpaqueTypeILi8EEEEELb0EPKjPjPKSA_PSA_mNS0_19identity_decomposerEEEvT1_T2_T3_T4_jPT5_SO_PNS1_23onesweep_lookback_stateET6_jjj
	.p2align	8
	.type	_ZN7rocprim17ROCPRIM_304000_NS6detail25onesweep_iteration_kernelINS1_34wrapped_radix_sort_onesweep_configINS0_14default_configEjN2at4cuda3cub6detail10OpaqueTypeILi8EEEEELb0EPKjPjPKSA_PSA_mNS0_19identity_decomposerEEEvT1_T2_T3_T4_jPT5_SO_PNS1_23onesweep_lookback_stateET6_jjj,@function
_ZN7rocprim17ROCPRIM_304000_NS6detail25onesweep_iteration_kernelINS1_34wrapped_radix_sort_onesweep_configINS0_14default_configEjN2at4cuda3cub6detail10OpaqueTypeILi8EEEEELb0EPKjPjPKSA_PSA_mNS0_19identity_decomposerEEEvT1_T2_T3_T4_jPT5_SO_PNS1_23onesweep_lookback_stateET6_jjj: ; @_ZN7rocprim17ROCPRIM_304000_NS6detail25onesweep_iteration_kernelINS1_34wrapped_radix_sort_onesweep_configINS0_14default_configEjN2at4cuda3cub6detail10OpaqueTypeILi8EEEEELb0EPKjPjPKSA_PSA_mNS0_19identity_decomposerEEEvT1_T2_T3_T4_jPT5_SO_PNS1_23onesweep_lookback_stateET6_jjj
; %bb.0:
	s_load_dwordx8 s[56:63], s[4:5], 0x0
	s_load_dwordx4 s[68:71], s[4:5], 0x44
	s_load_dwordx4 s[64:67], s[4:5], 0x28
	s_load_dwordx2 s[72:73], s[4:5], 0x38
	s_mov_b32 s7, s6
	s_mov_b64 s[0:1], -1
	s_waitcnt lgkmcnt(0)
	s_cmp_ge_u32 s6, s70
	s_mul_i32 s54, s6, 0xc00
	v_mbcnt_lo_u32_b32 v29, -1, 0
	s_cbranch_scc0 .LBB24_152
; %bb.1:
	s_load_dword s2, s[4:5], 0x20
	s_mulk_i32 s70, 0xf400
	s_mov_b32 s55, 0
	s_lshl_b64 s[0:1], s[54:55], 2
	v_mbcnt_hi_u32_b32 v10, -1, v29
	s_waitcnt lgkmcnt(0)
	s_add_i32 s70, s70, s2
	s_add_u32 s0, s56, s0
	s_addc_u32 s1, s57, s1
	v_and_b32_e32 v19, 0xc0, v0
	v_lshlrev_b32_e32 v3, 2, v10
	v_mul_u32_u24_e32 v9, 12, v19
	v_mov_b32_e32 v4, s1
	v_add_co_u32_e32 v3, vcc, s0, v3
	v_addc_co_u32_e32 v4, vcc, 0, v4, vcc
	v_lshlrev_b32_e32 v5, 2, v9
	v_add_co_u32_e32 v3, vcc, v3, v5
	v_addc_co_u32_e32 v4, vcc, 0, v4, vcc
	v_or_b32_e32 v5, v10, v9
	v_mov_b32_e32 v7, -1
	v_cmp_gt_u32_e32 vcc, s70, v5
	v_mov_b32_e32 v8, -1
	s_and_saveexec_b64 s[0:1], vcc
	s_cbranch_execz .LBB24_3
; %bb.2:
	global_load_dword v8, v[3:4], off
.LBB24_3:
	s_or_b64 exec, exec, s[0:1]
	v_add_u32_e32 v6, 64, v5
	v_cmp_gt_u32_e64 s[0:1], s70, v6
	s_and_saveexec_b64 s[2:3], s[0:1]
	s_cbranch_execz .LBB24_5
; %bb.4:
	global_load_dword v7, v[3:4], off offset:256
.LBB24_5:
	s_or_b64 exec, exec, s[2:3]
	v_add_u32_e32 v6, 0x80, v5
	v_cmp_gt_u32_e64 s[2:3], s70, v6
	v_mov_b32_e32 v11, -1
	v_mov_b32_e32 v12, -1
	s_and_saveexec_b64 s[8:9], s[2:3]
	s_cbranch_execz .LBB24_7
; %bb.6:
	global_load_dword v12, v[3:4], off offset:512
.LBB24_7:
	s_or_b64 exec, exec, s[8:9]
	v_add_u32_e32 v6, 0xc0, v5
	v_cmp_gt_u32_e64 s[50:51], s70, v6
	s_and_saveexec_b64 s[8:9], s[50:51]
	s_cbranch_execz .LBB24_9
; %bb.8:
	global_load_dword v11, v[3:4], off offset:768
.LBB24_9:
	s_or_b64 exec, exec, s[8:9]
	v_add_u32_e32 v6, 0x100, v5
	v_cmp_gt_u32_e64 s[8:9], s70, v6
	v_mov_b32_e32 v13, -1
	v_mov_b32_e32 v14, -1
	s_and_saveexec_b64 s[10:11], s[8:9]
	s_cbranch_execz .LBB24_11
; %bb.10:
	global_load_dword v14, v[3:4], off offset:1024
.LBB24_11:
	;; [unrolled: 18-line block ×5, first 2 shown]
	s_or_b64 exec, exec, s[10:11]
	v_add_u32_e32 v5, 0x2c0, v5
	v_cmp_gt_u32_e64 s[10:11], s70, v5
	s_and_saveexec_b64 s[24:25], s[10:11]
	s_cbranch_execz .LBB24_25
; %bb.24:
	global_load_dword v20, v[3:4], off offset:2816
.LBB24_25:
	s_or_b64 exec, exec, s[24:25]
	s_load_dword s24, s[4:5], 0x5c
	s_load_dword s33, s[4:5], 0x50
	s_add_u32 s25, s4, 0x50
	s_addc_u32 s26, s5, 0
	v_mov_b32_e32 v3, 0
	s_waitcnt lgkmcnt(0)
	s_lshr_b32 s27, s24, 16
	s_cmp_lt_u32 s6, s33
	s_cselect_b32 s24, 12, 18
	s_add_u32 s24, s25, s24
	s_addc_u32 s25, s26, 0
	global_load_ushort v5, v3, s[24:25]
	s_lshl_b32 s24, -1, s69
	s_waitcnt vmcnt(1)
	v_lshrrev_b32_e32 v4, s68, v8
	s_not_b32 s74, s24
	v_and_b32_e32 v23, s74, v4
	v_and_b32_e32 v24, 1, v23
	v_add_co_u32_e64 v26, s[24:25], -1, v24
	v_lshlrev_b32_e32 v4, 30, v23
	v_addc_co_u32_e64 v27, s[24:25], 0, -1, s[24:25]
	v_mad_u32_u24 v6, v2, s27, v1
	v_cmp_ne_u32_e64 s[24:25], 0, v24
	v_cmp_gt_i64_e64 s[26:27], 0, v[3:4]
	v_not_b32_e32 v24, v4
	v_lshlrev_b32_e32 v4, 29, v23
	v_xor_b32_e32 v27, s25, v27
	v_xor_b32_e32 v26, s24, v26
	v_ashrrev_i32_e32 v24, 31, v24
	v_cmp_gt_i64_e64 s[24:25], 0, v[3:4]
	v_not_b32_e32 v28, v4
	v_lshlrev_b32_e32 v4, 28, v23
	v_and_b32_e32 v27, exec_hi, v27
	v_and_b32_e32 v26, exec_lo, v26
	v_xor_b32_e32 v30, s27, v24
	v_xor_b32_e32 v24, s26, v24
	v_ashrrev_i32_e32 v28, 31, v28
	v_cmp_gt_i64_e64 s[26:27], 0, v[3:4]
	v_not_b32_e32 v31, v4
	v_lshlrev_b32_e32 v4, 27, v23
	v_and_b32_e32 v27, v27, v30
	v_and_b32_e32 v24, v26, v24
	v_xor_b32_e32 v26, s25, v28
	v_xor_b32_e32 v28, s24, v28
	v_ashrrev_i32_e32 v30, 31, v31
	v_cmp_gt_i64_e64 s[24:25], 0, v[3:4]
	v_not_b32_e32 v31, v4
	v_lshlrev_b32_e32 v4, 26, v23
	v_and_b32_e32 v26, v27, v26
	v_and_b32_e32 v24, v24, v28
	v_xor_b32_e32 v27, s27, v30
	v_xor_b32_e32 v28, s26, v30
	v_ashrrev_i32_e32 v30, 31, v31
	v_cmp_gt_i64_e64 s[26:27], 0, v[3:4]
	v_not_b32_e32 v31, v4
	v_lshlrev_b32_e32 v4, 25, v23
	v_and_b32_e32 v26, v26, v27
	v_and_b32_e32 v24, v24, v28
	v_xor_b32_e32 v27, s25, v30
	v_xor_b32_e32 v28, s24, v30
	v_ashrrev_i32_e32 v30, 31, v31
	v_cmp_gt_i64_e64 s[24:25], 0, v[3:4]
	v_not_b32_e32 v31, v4
	v_mul_lo_u32 v25, v23, 20
	v_lshlrev_b32_e32 v4, 24, v23
	v_and_b32_e32 v23, v26, v27
	v_and_b32_e32 v24, v24, v28
	v_xor_b32_e32 v26, s27, v30
	v_xor_b32_e32 v27, s26, v30
	v_ashrrev_i32_e32 v28, 31, v31
	v_and_b32_e32 v23, v23, v26
	v_and_b32_e32 v24, v24, v27
	v_xor_b32_e32 v26, s25, v28
	v_xor_b32_e32 v27, s24, v28
	v_cmp_gt_i64_e64 s[26:27], 0, v[3:4]
	v_not_b32_e32 v4, v4
	v_and_b32_e32 v26, v23, v26
	v_and_b32_e32 v27, v24, v27
	v_ashrrev_i32_e32 v4, 31, v4
	v_xor_b32_e32 v28, s27, v4
	v_xor_b32_e32 v4, s26, v4
	v_and_b32_e32 v4, v27, v4
	v_mul_u32_u24_e32 v22, 20, v0
	ds_write2_b32 v22, v3, v3 offset0:4 offset1:5
	ds_write2_b32 v22, v3, v3 offset0:6 offset1:7
	ds_write_b32 v22, v3 offset:32
	s_waitcnt vmcnt(0) lgkmcnt(0)
	s_barrier
	; wave barrier
	v_mad_u64_u32 v[23:24], s[24:25], v6, v5, v[0:1]
	v_and_b32_e32 v5, v26, v28
	v_cmp_ne_u64_e64 s[24:25], 0, v[4:5]
	v_lshrrev_b32_e32 v6, 4, v23
	v_mbcnt_lo_u32_b32 v23, v4, 0
	v_mbcnt_hi_u32_b32 v23, v5, v23
	v_and_b32_e32 v6, 0xffffffc, v6
	v_cmp_eq_u32_e64 s[26:27], 0, v23
	s_and_b64 s[26:27], s[24:25], s[26:27]
	v_add_u32_e32 v25, v6, v25
	s_and_saveexec_b64 s[24:25], s[26:27]
; %bb.26:
	v_bcnt_u32_b32 v4, v4, 0
	v_bcnt_u32_b32 v4, v5, v4
	ds_write_b32 v25, v4 offset:16
; %bb.27:
	s_or_b64 exec, exec, s[24:25]
	v_lshrrev_b32_e32 v4, s68, v7
	v_and_b32_e32 v5, s74, v4
	v_mul_lo_u32 v4, v5, 20
	v_and_b32_e32 v27, 1, v5
	; wave barrier
	v_add_u32_e32 v26, v6, v4
	v_add_co_u32_e64 v4, s[24:25], -1, v27
	v_addc_co_u32_e64 v28, s[24:25], 0, -1, s[24:25]
	v_cmp_ne_u32_e64 s[24:25], 0, v27
	v_xor_b32_e32 v4, s24, v4
	v_xor_b32_e32 v27, s25, v28
	v_and_b32_e32 v28, exec_lo, v4
	v_lshlrev_b32_e32 v4, 30, v5
	v_cmp_gt_i64_e64 s[24:25], 0, v[3:4]
	v_not_b32_e32 v4, v4
	v_ashrrev_i32_e32 v4, 31, v4
	v_xor_b32_e32 v30, s25, v4
	v_xor_b32_e32 v4, s24, v4
	v_and_b32_e32 v28, v28, v4
	v_lshlrev_b32_e32 v4, 29, v5
	v_cmp_gt_i64_e64 s[24:25], 0, v[3:4]
	v_not_b32_e32 v4, v4
	v_and_b32_e32 v27, exec_hi, v27
	v_ashrrev_i32_e32 v4, 31, v4
	v_and_b32_e32 v27, v27, v30
	v_xor_b32_e32 v30, s25, v4
	v_xor_b32_e32 v4, s24, v4
	v_and_b32_e32 v28, v28, v4
	v_lshlrev_b32_e32 v4, 28, v5
	v_cmp_gt_i64_e64 s[24:25], 0, v[3:4]
	v_not_b32_e32 v4, v4
	v_ashrrev_i32_e32 v4, 31, v4
	v_and_b32_e32 v27, v27, v30
	v_xor_b32_e32 v30, s25, v4
	v_xor_b32_e32 v4, s24, v4
	v_and_b32_e32 v28, v28, v4
	v_lshlrev_b32_e32 v4, 27, v5
	v_cmp_gt_i64_e64 s[24:25], 0, v[3:4]
	v_not_b32_e32 v4, v4
	;; [unrolled: 8-line block ×5, first 2 shown]
	v_ashrrev_i32_e32 v3, 31, v3
	v_xor_b32_e32 v4, s25, v3
	v_xor_b32_e32 v3, s24, v3
	ds_read_b32 v24, v26 offset:16
	v_and_b32_e32 v27, v27, v30
	v_and_b32_e32 v3, v28, v3
	;; [unrolled: 1-line block ×3, first 2 shown]
	v_mbcnt_lo_u32_b32 v5, v3, 0
	v_mbcnt_hi_u32_b32 v27, v4, v5
	v_cmp_ne_u64_e64 s[24:25], 0, v[3:4]
	v_cmp_eq_u32_e64 s[26:27], 0, v27
	s_and_b64 s[26:27], s[24:25], s[26:27]
	; wave barrier
	s_and_saveexec_b64 s[24:25], s[26:27]
	s_cbranch_execz .LBB24_29
; %bb.28:
	v_bcnt_u32_b32 v3, v3, 0
	v_bcnt_u32_b32 v3, v4, v3
	s_waitcnt lgkmcnt(0)
	v_add_u32_e32 v3, v24, v3
	ds_write_b32 v26, v3 offset:16
.LBB24_29:
	s_or_b64 exec, exec, s[24:25]
	v_lshrrev_b32_e32 v3, s68, v12
	v_and_b32_e32 v5, s74, v3
	v_and_b32_e32 v4, 1, v5
	v_mul_lo_u32 v3, v5, 20
	v_add_co_u32_e64 v31, s[24:25], -1, v4
	v_addc_co_u32_e64 v32, s[24:25], 0, -1, s[24:25]
	v_cmp_ne_u32_e64 s[24:25], 0, v4
	v_xor_b32_e32 v4, s25, v32
	v_add_u32_e32 v30, v6, v3
	v_mov_b32_e32 v3, 0
	v_and_b32_e32 v32, exec_hi, v4
	v_lshlrev_b32_e32 v4, 30, v5
	v_xor_b32_e32 v31, s24, v31
	v_cmp_gt_i64_e64 s[24:25], 0, v[3:4]
	v_not_b32_e32 v4, v4
	v_ashrrev_i32_e32 v4, 31, v4
	v_and_b32_e32 v31, exec_lo, v31
	v_xor_b32_e32 v33, s25, v4
	v_xor_b32_e32 v4, s24, v4
	v_and_b32_e32 v31, v31, v4
	v_lshlrev_b32_e32 v4, 29, v5
	v_cmp_gt_i64_e64 s[24:25], 0, v[3:4]
	v_not_b32_e32 v4, v4
	v_ashrrev_i32_e32 v4, 31, v4
	v_and_b32_e32 v32, v32, v33
	v_xor_b32_e32 v33, s25, v4
	v_xor_b32_e32 v4, s24, v4
	v_and_b32_e32 v31, v31, v4
	v_lshlrev_b32_e32 v4, 28, v5
	v_cmp_gt_i64_e64 s[24:25], 0, v[3:4]
	v_not_b32_e32 v4, v4
	v_ashrrev_i32_e32 v4, 31, v4
	v_and_b32_e32 v32, v32, v33
	;; [unrolled: 8-line block ×5, first 2 shown]
	v_xor_b32_e32 v33, s25, v4
	v_xor_b32_e32 v4, s24, v4
	v_and_b32_e32 v31, v31, v4
	v_lshlrev_b32_e32 v4, 24, v5
	v_cmp_gt_i64_e64 s[24:25], 0, v[3:4]
	v_not_b32_e32 v4, v4
	v_ashrrev_i32_e32 v4, 31, v4
	v_xor_b32_e32 v5, s25, v4
	v_xor_b32_e32 v4, s24, v4
	; wave barrier
	ds_read_b32 v28, v30 offset:16
	v_and_b32_e32 v32, v32, v33
	v_and_b32_e32 v4, v31, v4
	;; [unrolled: 1-line block ×3, first 2 shown]
	v_mbcnt_lo_u32_b32 v31, v4, 0
	v_mbcnt_hi_u32_b32 v31, v5, v31
	v_cmp_ne_u64_e64 s[24:25], 0, v[4:5]
	v_cmp_eq_u32_e64 s[26:27], 0, v31
	s_and_b64 s[26:27], s[24:25], s[26:27]
	; wave barrier
	s_and_saveexec_b64 s[24:25], s[26:27]
	s_cbranch_execz .LBB24_31
; %bb.30:
	v_bcnt_u32_b32 v4, v4, 0
	v_bcnt_u32_b32 v4, v5, v4
	s_waitcnt lgkmcnt(0)
	v_add_u32_e32 v4, v28, v4
	ds_write_b32 v30, v4 offset:16
.LBB24_31:
	s_or_b64 exec, exec, s[24:25]
	v_lshrrev_b32_e32 v4, s68, v11
	v_and_b32_e32 v5, s74, v4
	v_mul_lo_u32 v4, v5, 20
	v_and_b32_e32 v34, 1, v5
	; wave barrier
	v_add_u32_e32 v33, v6, v4
	v_add_co_u32_e64 v4, s[24:25], -1, v34
	v_addc_co_u32_e64 v35, s[24:25], 0, -1, s[24:25]
	v_cmp_ne_u32_e64 s[24:25], 0, v34
	v_xor_b32_e32 v4, s24, v4
	v_xor_b32_e32 v34, s25, v35
	v_and_b32_e32 v35, exec_lo, v4
	v_lshlrev_b32_e32 v4, 30, v5
	v_cmp_gt_i64_e64 s[24:25], 0, v[3:4]
	v_not_b32_e32 v4, v4
	v_ashrrev_i32_e32 v4, 31, v4
	v_xor_b32_e32 v36, s25, v4
	v_xor_b32_e32 v4, s24, v4
	v_and_b32_e32 v35, v35, v4
	v_lshlrev_b32_e32 v4, 29, v5
	v_cmp_gt_i64_e64 s[24:25], 0, v[3:4]
	v_not_b32_e32 v4, v4
	v_and_b32_e32 v34, exec_hi, v34
	v_ashrrev_i32_e32 v4, 31, v4
	v_and_b32_e32 v34, v34, v36
	v_xor_b32_e32 v36, s25, v4
	v_xor_b32_e32 v4, s24, v4
	v_and_b32_e32 v35, v35, v4
	v_lshlrev_b32_e32 v4, 28, v5
	v_cmp_gt_i64_e64 s[24:25], 0, v[3:4]
	v_not_b32_e32 v4, v4
	v_ashrrev_i32_e32 v4, 31, v4
	v_and_b32_e32 v34, v34, v36
	v_xor_b32_e32 v36, s25, v4
	v_xor_b32_e32 v4, s24, v4
	v_and_b32_e32 v35, v35, v4
	v_lshlrev_b32_e32 v4, 27, v5
	v_cmp_gt_i64_e64 s[24:25], 0, v[3:4]
	v_not_b32_e32 v4, v4
	;; [unrolled: 8-line block ×5, first 2 shown]
	v_ashrrev_i32_e32 v3, 31, v3
	v_xor_b32_e32 v4, s25, v3
	v_xor_b32_e32 v3, s24, v3
	ds_read_b32 v32, v33 offset:16
	v_and_b32_e32 v34, v34, v36
	v_and_b32_e32 v3, v35, v3
	;; [unrolled: 1-line block ×3, first 2 shown]
	v_mbcnt_lo_u32_b32 v5, v3, 0
	v_mbcnt_hi_u32_b32 v34, v4, v5
	v_cmp_ne_u64_e64 s[24:25], 0, v[3:4]
	v_cmp_eq_u32_e64 s[26:27], 0, v34
	s_and_b64 s[26:27], s[24:25], s[26:27]
	; wave barrier
	s_and_saveexec_b64 s[24:25], s[26:27]
	s_cbranch_execz .LBB24_33
; %bb.32:
	v_bcnt_u32_b32 v3, v3, 0
	v_bcnt_u32_b32 v3, v4, v3
	s_waitcnt lgkmcnt(0)
	v_add_u32_e32 v3, v32, v3
	ds_write_b32 v33, v3 offset:16
.LBB24_33:
	s_or_b64 exec, exec, s[24:25]
	v_lshrrev_b32_e32 v3, s68, v14
	v_and_b32_e32 v5, s74, v3
	v_and_b32_e32 v4, 1, v5
	v_mul_lo_u32 v3, v5, 20
	v_add_co_u32_e64 v37, s[24:25], -1, v4
	v_addc_co_u32_e64 v38, s[24:25], 0, -1, s[24:25]
	v_cmp_ne_u32_e64 s[24:25], 0, v4
	v_xor_b32_e32 v4, s25, v38
	v_add_u32_e32 v36, v6, v3
	v_mov_b32_e32 v3, 0
	v_and_b32_e32 v38, exec_hi, v4
	v_lshlrev_b32_e32 v4, 30, v5
	v_xor_b32_e32 v37, s24, v37
	v_cmp_gt_i64_e64 s[24:25], 0, v[3:4]
	v_not_b32_e32 v4, v4
	v_ashrrev_i32_e32 v4, 31, v4
	v_and_b32_e32 v37, exec_lo, v37
	v_xor_b32_e32 v39, s25, v4
	v_xor_b32_e32 v4, s24, v4
	v_and_b32_e32 v37, v37, v4
	v_lshlrev_b32_e32 v4, 29, v5
	v_cmp_gt_i64_e64 s[24:25], 0, v[3:4]
	v_not_b32_e32 v4, v4
	v_ashrrev_i32_e32 v4, 31, v4
	v_and_b32_e32 v38, v38, v39
	v_xor_b32_e32 v39, s25, v4
	v_xor_b32_e32 v4, s24, v4
	v_and_b32_e32 v37, v37, v4
	v_lshlrev_b32_e32 v4, 28, v5
	v_cmp_gt_i64_e64 s[24:25], 0, v[3:4]
	v_not_b32_e32 v4, v4
	v_ashrrev_i32_e32 v4, 31, v4
	v_and_b32_e32 v38, v38, v39
	;; [unrolled: 8-line block ×5, first 2 shown]
	v_xor_b32_e32 v39, s25, v4
	v_xor_b32_e32 v4, s24, v4
	v_and_b32_e32 v37, v37, v4
	v_lshlrev_b32_e32 v4, 24, v5
	v_cmp_gt_i64_e64 s[24:25], 0, v[3:4]
	v_not_b32_e32 v4, v4
	v_ashrrev_i32_e32 v4, 31, v4
	v_xor_b32_e32 v5, s25, v4
	v_xor_b32_e32 v4, s24, v4
	; wave barrier
	ds_read_b32 v35, v36 offset:16
	v_and_b32_e32 v38, v38, v39
	v_and_b32_e32 v4, v37, v4
	;; [unrolled: 1-line block ×3, first 2 shown]
	v_mbcnt_lo_u32_b32 v37, v4, 0
	v_mbcnt_hi_u32_b32 v37, v5, v37
	v_cmp_ne_u64_e64 s[24:25], 0, v[4:5]
	v_cmp_eq_u32_e64 s[26:27], 0, v37
	s_and_b64 s[26:27], s[24:25], s[26:27]
	; wave barrier
	s_and_saveexec_b64 s[24:25], s[26:27]
	s_cbranch_execz .LBB24_35
; %bb.34:
	v_bcnt_u32_b32 v4, v4, 0
	v_bcnt_u32_b32 v4, v5, v4
	s_waitcnt lgkmcnt(0)
	v_add_u32_e32 v4, v35, v4
	ds_write_b32 v36, v4 offset:16
.LBB24_35:
	s_or_b64 exec, exec, s[24:25]
	v_lshrrev_b32_e32 v4, s68, v13
	v_and_b32_e32 v5, s74, v4
	v_mul_lo_u32 v4, v5, 20
	v_and_b32_e32 v40, 1, v5
	; wave barrier
	v_add_u32_e32 v39, v6, v4
	v_add_co_u32_e64 v4, s[24:25], -1, v40
	v_addc_co_u32_e64 v41, s[24:25], 0, -1, s[24:25]
	v_cmp_ne_u32_e64 s[24:25], 0, v40
	v_xor_b32_e32 v4, s24, v4
	v_xor_b32_e32 v40, s25, v41
	v_and_b32_e32 v41, exec_lo, v4
	v_lshlrev_b32_e32 v4, 30, v5
	v_cmp_gt_i64_e64 s[24:25], 0, v[3:4]
	v_not_b32_e32 v4, v4
	v_ashrrev_i32_e32 v4, 31, v4
	v_xor_b32_e32 v42, s25, v4
	v_xor_b32_e32 v4, s24, v4
	v_and_b32_e32 v41, v41, v4
	v_lshlrev_b32_e32 v4, 29, v5
	v_cmp_gt_i64_e64 s[24:25], 0, v[3:4]
	v_not_b32_e32 v4, v4
	v_and_b32_e32 v40, exec_hi, v40
	v_ashrrev_i32_e32 v4, 31, v4
	v_and_b32_e32 v40, v40, v42
	v_xor_b32_e32 v42, s25, v4
	v_xor_b32_e32 v4, s24, v4
	v_and_b32_e32 v41, v41, v4
	v_lshlrev_b32_e32 v4, 28, v5
	v_cmp_gt_i64_e64 s[24:25], 0, v[3:4]
	v_not_b32_e32 v4, v4
	v_ashrrev_i32_e32 v4, 31, v4
	v_and_b32_e32 v40, v40, v42
	v_xor_b32_e32 v42, s25, v4
	v_xor_b32_e32 v4, s24, v4
	v_and_b32_e32 v41, v41, v4
	v_lshlrev_b32_e32 v4, 27, v5
	v_cmp_gt_i64_e64 s[24:25], 0, v[3:4]
	v_not_b32_e32 v4, v4
	;; [unrolled: 8-line block ×5, first 2 shown]
	v_ashrrev_i32_e32 v3, 31, v3
	v_xor_b32_e32 v4, s25, v3
	v_xor_b32_e32 v3, s24, v3
	ds_read_b32 v38, v39 offset:16
	v_and_b32_e32 v40, v40, v42
	v_and_b32_e32 v3, v41, v3
	;; [unrolled: 1-line block ×3, first 2 shown]
	v_mbcnt_lo_u32_b32 v5, v3, 0
	v_mbcnt_hi_u32_b32 v45, v4, v5
	v_cmp_ne_u64_e64 s[24:25], 0, v[3:4]
	v_cmp_eq_u32_e64 s[26:27], 0, v45
	s_and_b64 s[26:27], s[24:25], s[26:27]
	; wave barrier
	s_and_saveexec_b64 s[24:25], s[26:27]
	s_cbranch_execz .LBB24_37
; %bb.36:
	v_bcnt_u32_b32 v3, v3, 0
	v_bcnt_u32_b32 v3, v4, v3
	s_waitcnt lgkmcnt(0)
	v_add_u32_e32 v3, v38, v3
	ds_write_b32 v39, v3 offset:16
.LBB24_37:
	s_or_b64 exec, exec, s[24:25]
	v_lshrrev_b32_e32 v3, s68, v16
	v_and_b32_e32 v5, s74, v3
	v_and_b32_e32 v4, 1, v5
	v_mul_lo_u32 v3, v5, 20
	v_add_co_u32_e64 v41, s[24:25], -1, v4
	v_addc_co_u32_e64 v42, s[24:25], 0, -1, s[24:25]
	v_cmp_ne_u32_e64 s[24:25], 0, v4
	v_xor_b32_e32 v4, s25, v42
	v_add_u32_e32 v40, v6, v3
	v_mov_b32_e32 v3, 0
	v_and_b32_e32 v42, exec_hi, v4
	v_lshlrev_b32_e32 v4, 30, v5
	v_xor_b32_e32 v41, s24, v41
	v_cmp_gt_i64_e64 s[24:25], 0, v[3:4]
	v_not_b32_e32 v4, v4
	v_ashrrev_i32_e32 v4, 31, v4
	v_and_b32_e32 v41, exec_lo, v41
	v_xor_b32_e32 v43, s25, v4
	v_xor_b32_e32 v4, s24, v4
	v_and_b32_e32 v41, v41, v4
	v_lshlrev_b32_e32 v4, 29, v5
	v_cmp_gt_i64_e64 s[24:25], 0, v[3:4]
	v_not_b32_e32 v4, v4
	v_ashrrev_i32_e32 v4, 31, v4
	v_and_b32_e32 v42, v42, v43
	v_xor_b32_e32 v43, s25, v4
	v_xor_b32_e32 v4, s24, v4
	v_and_b32_e32 v41, v41, v4
	v_lshlrev_b32_e32 v4, 28, v5
	v_cmp_gt_i64_e64 s[24:25], 0, v[3:4]
	v_not_b32_e32 v4, v4
	v_ashrrev_i32_e32 v4, 31, v4
	v_and_b32_e32 v42, v42, v43
	;; [unrolled: 8-line block ×5, first 2 shown]
	v_xor_b32_e32 v43, s25, v4
	v_xor_b32_e32 v4, s24, v4
	v_and_b32_e32 v41, v41, v4
	v_lshlrev_b32_e32 v4, 24, v5
	v_cmp_gt_i64_e64 s[24:25], 0, v[3:4]
	v_not_b32_e32 v4, v4
	v_ashrrev_i32_e32 v4, 31, v4
	v_xor_b32_e32 v5, s25, v4
	v_xor_b32_e32 v4, s24, v4
	; wave barrier
	ds_read_b32 v46, v40 offset:16
	v_and_b32_e32 v42, v42, v43
	v_and_b32_e32 v4, v41, v4
	;; [unrolled: 1-line block ×3, first 2 shown]
	v_mbcnt_lo_u32_b32 v41, v4, 0
	v_mbcnt_hi_u32_b32 v47, v5, v41
	v_cmp_ne_u64_e64 s[24:25], 0, v[4:5]
	v_cmp_eq_u32_e64 s[26:27], 0, v47
	s_and_b64 s[26:27], s[24:25], s[26:27]
	; wave barrier
	s_and_saveexec_b64 s[24:25], s[26:27]
	s_cbranch_execz .LBB24_39
; %bb.38:
	v_bcnt_u32_b32 v4, v4, 0
	v_bcnt_u32_b32 v4, v5, v4
	s_waitcnt lgkmcnt(0)
	v_add_u32_e32 v4, v46, v4
	ds_write_b32 v40, v4 offset:16
.LBB24_39:
	s_or_b64 exec, exec, s[24:25]
	v_lshrrev_b32_e32 v4, s68, v15
	v_and_b32_e32 v5, s74, v4
	v_mul_lo_u32 v4, v5, 20
	v_and_b32_e32 v42, 1, v5
	; wave barrier
	v_add_u32_e32 v41, v6, v4
	v_add_co_u32_e64 v4, s[24:25], -1, v42
	v_addc_co_u32_e64 v43, s[24:25], 0, -1, s[24:25]
	v_cmp_ne_u32_e64 s[24:25], 0, v42
	v_xor_b32_e32 v4, s24, v4
	v_xor_b32_e32 v42, s25, v43
	v_and_b32_e32 v43, exec_lo, v4
	v_lshlrev_b32_e32 v4, 30, v5
	v_cmp_gt_i64_e64 s[24:25], 0, v[3:4]
	v_not_b32_e32 v4, v4
	v_ashrrev_i32_e32 v4, 31, v4
	v_xor_b32_e32 v44, s25, v4
	v_xor_b32_e32 v4, s24, v4
	v_and_b32_e32 v43, v43, v4
	v_lshlrev_b32_e32 v4, 29, v5
	v_cmp_gt_i64_e64 s[24:25], 0, v[3:4]
	v_not_b32_e32 v4, v4
	v_and_b32_e32 v42, exec_hi, v42
	v_ashrrev_i32_e32 v4, 31, v4
	v_and_b32_e32 v42, v42, v44
	v_xor_b32_e32 v44, s25, v4
	v_xor_b32_e32 v4, s24, v4
	v_and_b32_e32 v43, v43, v4
	v_lshlrev_b32_e32 v4, 28, v5
	v_cmp_gt_i64_e64 s[24:25], 0, v[3:4]
	v_not_b32_e32 v4, v4
	v_ashrrev_i32_e32 v4, 31, v4
	v_and_b32_e32 v42, v42, v44
	v_xor_b32_e32 v44, s25, v4
	v_xor_b32_e32 v4, s24, v4
	v_and_b32_e32 v43, v43, v4
	v_lshlrev_b32_e32 v4, 27, v5
	v_cmp_gt_i64_e64 s[24:25], 0, v[3:4]
	v_not_b32_e32 v4, v4
	;; [unrolled: 8-line block ×5, first 2 shown]
	v_ashrrev_i32_e32 v3, 31, v3
	v_xor_b32_e32 v4, s25, v3
	v_xor_b32_e32 v3, s24, v3
	ds_read_b32 v48, v41 offset:16
	v_and_b32_e32 v42, v42, v44
	v_and_b32_e32 v3, v43, v3
	;; [unrolled: 1-line block ×3, first 2 shown]
	v_mbcnt_lo_u32_b32 v5, v3, 0
	v_mbcnt_hi_u32_b32 v49, v4, v5
	v_cmp_ne_u64_e64 s[24:25], 0, v[3:4]
	v_cmp_eq_u32_e64 s[26:27], 0, v49
	s_and_b64 s[26:27], s[24:25], s[26:27]
	; wave barrier
	s_and_saveexec_b64 s[24:25], s[26:27]
	s_cbranch_execz .LBB24_41
; %bb.40:
	v_bcnt_u32_b32 v3, v3, 0
	v_bcnt_u32_b32 v3, v4, v3
	s_waitcnt lgkmcnt(0)
	v_add_u32_e32 v3, v48, v3
	ds_write_b32 v41, v3 offset:16
.LBB24_41:
	s_or_b64 exec, exec, s[24:25]
	v_lshrrev_b32_e32 v3, s68, v18
	v_and_b32_e32 v5, s74, v3
	v_and_b32_e32 v4, 1, v5
	v_mul_lo_u32 v3, v5, 20
	v_add_co_u32_e64 v43, s[24:25], -1, v4
	v_addc_co_u32_e64 v44, s[24:25], 0, -1, s[24:25]
	v_cmp_ne_u32_e64 s[24:25], 0, v4
	v_xor_b32_e32 v4, s25, v44
	v_add_u32_e32 v42, v6, v3
	v_mov_b32_e32 v3, 0
	v_and_b32_e32 v44, exec_hi, v4
	v_lshlrev_b32_e32 v4, 30, v5
	v_xor_b32_e32 v43, s24, v43
	v_cmp_gt_i64_e64 s[24:25], 0, v[3:4]
	v_not_b32_e32 v4, v4
	v_ashrrev_i32_e32 v4, 31, v4
	v_and_b32_e32 v43, exec_lo, v43
	v_xor_b32_e32 v51, s25, v4
	v_xor_b32_e32 v4, s24, v4
	v_and_b32_e32 v43, v43, v4
	v_lshlrev_b32_e32 v4, 29, v5
	v_cmp_gt_i64_e64 s[24:25], 0, v[3:4]
	v_not_b32_e32 v4, v4
	v_ashrrev_i32_e32 v4, 31, v4
	v_and_b32_e32 v44, v44, v51
	v_xor_b32_e32 v51, s25, v4
	v_xor_b32_e32 v4, s24, v4
	v_and_b32_e32 v43, v43, v4
	v_lshlrev_b32_e32 v4, 28, v5
	v_cmp_gt_i64_e64 s[24:25], 0, v[3:4]
	v_not_b32_e32 v4, v4
	v_ashrrev_i32_e32 v4, 31, v4
	v_and_b32_e32 v44, v44, v51
	;; [unrolled: 8-line block ×5, first 2 shown]
	v_xor_b32_e32 v51, s25, v4
	v_xor_b32_e32 v4, s24, v4
	v_and_b32_e32 v43, v43, v4
	v_lshlrev_b32_e32 v4, 24, v5
	v_cmp_gt_i64_e64 s[24:25], 0, v[3:4]
	v_not_b32_e32 v4, v4
	v_ashrrev_i32_e32 v4, 31, v4
	v_xor_b32_e32 v5, s25, v4
	v_xor_b32_e32 v4, s24, v4
	; wave barrier
	ds_read_b32 v50, v42 offset:16
	v_and_b32_e32 v44, v44, v51
	v_and_b32_e32 v4, v43, v4
	;; [unrolled: 1-line block ×3, first 2 shown]
	v_mbcnt_lo_u32_b32 v43, v4, 0
	v_mbcnt_hi_u32_b32 v51, v5, v43
	v_cmp_ne_u64_e64 s[24:25], 0, v[4:5]
	v_cmp_eq_u32_e64 s[26:27], 0, v51
	s_and_b64 s[26:27], s[24:25], s[26:27]
	; wave barrier
	s_and_saveexec_b64 s[24:25], s[26:27]
	s_cbranch_execz .LBB24_43
; %bb.42:
	v_bcnt_u32_b32 v4, v4, 0
	v_bcnt_u32_b32 v4, v5, v4
	s_waitcnt lgkmcnt(0)
	v_add_u32_e32 v4, v50, v4
	ds_write_b32 v42, v4 offset:16
.LBB24_43:
	s_or_b64 exec, exec, s[24:25]
	v_lshrrev_b32_e32 v4, s68, v17
	v_and_b32_e32 v5, s74, v4
	v_mul_lo_u32 v4, v5, 20
	v_and_b32_e32 v44, 1, v5
	; wave barrier
	v_add_u32_e32 v43, v6, v4
	v_add_co_u32_e64 v4, s[24:25], -1, v44
	v_addc_co_u32_e64 v53, s[24:25], 0, -1, s[24:25]
	v_cmp_ne_u32_e64 s[24:25], 0, v44
	v_xor_b32_e32 v4, s24, v4
	v_xor_b32_e32 v44, s25, v53
	v_and_b32_e32 v53, exec_lo, v4
	v_lshlrev_b32_e32 v4, 30, v5
	v_cmp_gt_i64_e64 s[24:25], 0, v[3:4]
	v_not_b32_e32 v4, v4
	v_ashrrev_i32_e32 v4, 31, v4
	v_xor_b32_e32 v54, s25, v4
	v_xor_b32_e32 v4, s24, v4
	v_and_b32_e32 v53, v53, v4
	v_lshlrev_b32_e32 v4, 29, v5
	v_cmp_gt_i64_e64 s[24:25], 0, v[3:4]
	v_not_b32_e32 v4, v4
	v_and_b32_e32 v44, exec_hi, v44
	v_ashrrev_i32_e32 v4, 31, v4
	v_and_b32_e32 v44, v44, v54
	v_xor_b32_e32 v54, s25, v4
	v_xor_b32_e32 v4, s24, v4
	v_and_b32_e32 v53, v53, v4
	v_lshlrev_b32_e32 v4, 28, v5
	v_cmp_gt_i64_e64 s[24:25], 0, v[3:4]
	v_not_b32_e32 v4, v4
	v_ashrrev_i32_e32 v4, 31, v4
	v_and_b32_e32 v44, v44, v54
	v_xor_b32_e32 v54, s25, v4
	v_xor_b32_e32 v4, s24, v4
	v_and_b32_e32 v53, v53, v4
	v_lshlrev_b32_e32 v4, 27, v5
	v_cmp_gt_i64_e64 s[24:25], 0, v[3:4]
	v_not_b32_e32 v4, v4
	;; [unrolled: 8-line block ×5, first 2 shown]
	v_ashrrev_i32_e32 v3, 31, v3
	v_xor_b32_e32 v4, s25, v3
	v_xor_b32_e32 v3, s24, v3
	ds_read_b32 v52, v43 offset:16
	v_and_b32_e32 v44, v44, v54
	v_and_b32_e32 v3, v53, v3
	;; [unrolled: 1-line block ×3, first 2 shown]
	v_mbcnt_lo_u32_b32 v5, v3, 0
	v_mbcnt_hi_u32_b32 v53, v4, v5
	v_cmp_ne_u64_e64 s[24:25], 0, v[3:4]
	v_cmp_eq_u32_e64 s[26:27], 0, v53
	s_and_b64 s[26:27], s[24:25], s[26:27]
	; wave barrier
	s_and_saveexec_b64 s[24:25], s[26:27]
	s_cbranch_execz .LBB24_45
; %bb.44:
	v_bcnt_u32_b32 v3, v3, 0
	v_bcnt_u32_b32 v3, v4, v3
	s_waitcnt lgkmcnt(0)
	v_add_u32_e32 v3, v52, v3
	ds_write_b32 v43, v3 offset:16
.LBB24_45:
	s_or_b64 exec, exec, s[24:25]
	v_lshrrev_b32_e32 v3, s68, v21
	v_and_b32_e32 v5, s74, v3
	v_and_b32_e32 v4, 1, v5
	v_mul_lo_u32 v3, v5, 20
	v_add_co_u32_e64 v55, s[24:25], -1, v4
	v_addc_co_u32_e64 v56, s[24:25], 0, -1, s[24:25]
	v_cmp_ne_u32_e64 s[24:25], 0, v4
	v_xor_b32_e32 v4, s25, v56
	v_add_u32_e32 v44, v6, v3
	v_mov_b32_e32 v3, 0
	v_and_b32_e32 v56, exec_hi, v4
	v_lshlrev_b32_e32 v4, 30, v5
	v_xor_b32_e32 v55, s24, v55
	v_cmp_gt_i64_e64 s[24:25], 0, v[3:4]
	v_not_b32_e32 v4, v4
	v_ashrrev_i32_e32 v4, 31, v4
	v_and_b32_e32 v55, exec_lo, v55
	v_xor_b32_e32 v57, s25, v4
	v_xor_b32_e32 v4, s24, v4
	v_and_b32_e32 v55, v55, v4
	v_lshlrev_b32_e32 v4, 29, v5
	v_cmp_gt_i64_e64 s[24:25], 0, v[3:4]
	v_not_b32_e32 v4, v4
	v_ashrrev_i32_e32 v4, 31, v4
	v_and_b32_e32 v56, v56, v57
	v_xor_b32_e32 v57, s25, v4
	v_xor_b32_e32 v4, s24, v4
	v_and_b32_e32 v55, v55, v4
	v_lshlrev_b32_e32 v4, 28, v5
	v_cmp_gt_i64_e64 s[24:25], 0, v[3:4]
	v_not_b32_e32 v4, v4
	v_ashrrev_i32_e32 v4, 31, v4
	v_and_b32_e32 v56, v56, v57
	;; [unrolled: 8-line block ×5, first 2 shown]
	v_xor_b32_e32 v57, s25, v4
	v_xor_b32_e32 v4, s24, v4
	v_and_b32_e32 v55, v55, v4
	v_lshlrev_b32_e32 v4, 24, v5
	v_cmp_gt_i64_e64 s[24:25], 0, v[3:4]
	v_not_b32_e32 v4, v4
	v_ashrrev_i32_e32 v4, 31, v4
	v_xor_b32_e32 v5, s25, v4
	v_xor_b32_e32 v4, s24, v4
	; wave barrier
	ds_read_b32 v54, v44 offset:16
	v_and_b32_e32 v56, v56, v57
	v_and_b32_e32 v4, v55, v4
	;; [unrolled: 1-line block ×3, first 2 shown]
	v_mbcnt_lo_u32_b32 v55, v4, 0
	v_mbcnt_hi_u32_b32 v55, v5, v55
	v_cmp_ne_u64_e64 s[24:25], 0, v[4:5]
	v_cmp_eq_u32_e64 s[26:27], 0, v55
	s_and_b64 s[26:27], s[24:25], s[26:27]
	; wave barrier
	s_and_saveexec_b64 s[24:25], s[26:27]
	s_cbranch_execz .LBB24_47
; %bb.46:
	v_bcnt_u32_b32 v4, v4, 0
	v_bcnt_u32_b32 v4, v5, v4
	s_waitcnt lgkmcnt(0)
	v_add_u32_e32 v4, v54, v4
	ds_write_b32 v44, v4 offset:16
.LBB24_47:
	s_or_b64 exec, exec, s[24:25]
	v_lshrrev_b32_e32 v4, s68, v20
	v_and_b32_e32 v5, s74, v4
	v_mul_lo_u32 v4, v5, 20
	v_and_b32_e32 v58, 1, v5
	; wave barrier
	v_add_u32_e32 v57, v6, v4
	v_add_co_u32_e64 v4, s[24:25], -1, v58
	v_addc_co_u32_e64 v6, s[24:25], 0, -1, s[24:25]
	v_cmp_ne_u32_e64 s[24:25], 0, v58
	v_xor_b32_e32 v4, s24, v4
	v_and_b32_e32 v58, exec_lo, v4
	v_lshlrev_b32_e32 v4, 30, v5
	v_xor_b32_e32 v6, s25, v6
	v_cmp_gt_i64_e64 s[24:25], 0, v[3:4]
	v_not_b32_e32 v4, v4
	v_ashrrev_i32_e32 v4, 31, v4
	v_xor_b32_e32 v59, s25, v4
	v_xor_b32_e32 v4, s24, v4
	v_and_b32_e32 v58, v58, v4
	v_lshlrev_b32_e32 v4, 29, v5
	v_cmp_gt_i64_e64 s[24:25], 0, v[3:4]
	v_not_b32_e32 v4, v4
	v_and_b32_e32 v6, exec_hi, v6
	v_ashrrev_i32_e32 v4, 31, v4
	v_and_b32_e32 v6, v6, v59
	v_xor_b32_e32 v59, s25, v4
	v_xor_b32_e32 v4, s24, v4
	v_and_b32_e32 v58, v58, v4
	v_lshlrev_b32_e32 v4, 28, v5
	v_cmp_gt_i64_e64 s[24:25], 0, v[3:4]
	v_not_b32_e32 v4, v4
	v_ashrrev_i32_e32 v4, 31, v4
	v_and_b32_e32 v6, v6, v59
	v_xor_b32_e32 v59, s25, v4
	v_xor_b32_e32 v4, s24, v4
	v_and_b32_e32 v58, v58, v4
	v_lshlrev_b32_e32 v4, 27, v5
	v_cmp_gt_i64_e64 s[24:25], 0, v[3:4]
	v_not_b32_e32 v4, v4
	;; [unrolled: 8-line block ×5, first 2 shown]
	v_ashrrev_i32_e32 v3, 31, v3
	v_xor_b32_e32 v4, s25, v3
	v_xor_b32_e32 v3, s24, v3
	ds_read_b32 v56, v57 offset:16
	v_and_b32_e32 v6, v6, v59
	v_and_b32_e32 v3, v58, v3
	;; [unrolled: 1-line block ×3, first 2 shown]
	v_mbcnt_lo_u32_b32 v5, v3, 0
	v_mbcnt_hi_u32_b32 v58, v4, v5
	v_cmp_ne_u64_e64 s[24:25], 0, v[3:4]
	v_cmp_eq_u32_e64 s[26:27], 0, v58
	s_and_b64 s[26:27], s[24:25], s[26:27]
	; wave barrier
	s_and_saveexec_b64 s[24:25], s[26:27]
	s_cbranch_execz .LBB24_49
; %bb.48:
	v_bcnt_u32_b32 v3, v3, 0
	v_bcnt_u32_b32 v3, v4, v3
	s_waitcnt lgkmcnt(0)
	v_add_u32_e32 v3, v56, v3
	ds_write_b32 v57, v3 offset:16
.LBB24_49:
	s_or_b64 exec, exec, s[24:25]
	; wave barrier
	s_waitcnt lgkmcnt(0)
	s_barrier
	ds_read2_b32 v[5:6], v22 offset0:4 offset1:5
	ds_read2_b32 v[3:4], v22 offset0:6 offset1:7
	ds_read_b32 v59, v22 offset:32
	v_min_u32_e32 v19, 0xc0, v19
	v_or_b32_e32 v19, 63, v19
	s_waitcnt lgkmcnt(1)
	v_add3_u32 v60, v6, v5, v3
	s_waitcnt lgkmcnt(0)
	v_add3_u32 v59, v60, v4, v59
	v_and_b32_e32 v60, 15, v10
	v_cmp_ne_u32_e64 s[24:25], 0, v60
	v_mov_b32_dpp v61, v59 row_shr:1 row_mask:0xf bank_mask:0xf
	v_cndmask_b32_e64 v61, 0, v61, s[24:25]
	v_add_u32_e32 v59, v61, v59
	v_cmp_lt_u32_e64 s[24:25], 1, v60
	s_nop 0
	v_mov_b32_dpp v61, v59 row_shr:2 row_mask:0xf bank_mask:0xf
	v_cndmask_b32_e64 v61, 0, v61, s[24:25]
	v_add_u32_e32 v59, v59, v61
	v_cmp_lt_u32_e64 s[24:25], 3, v60
	s_nop 0
	;; [unrolled: 5-line block ×3, first 2 shown]
	v_mov_b32_dpp v61, v59 row_shr:8 row_mask:0xf bank_mask:0xf
	v_cndmask_b32_e64 v60, 0, v61, s[24:25]
	v_add_u32_e32 v59, v59, v60
	v_bfe_i32 v61, v10, 4, 1
	v_cmp_lt_u32_e64 s[24:25], 31, v10
	v_mov_b32_dpp v60, v59 row_bcast:15 row_mask:0xf bank_mask:0xf
	v_and_b32_e32 v60, v61, v60
	v_add_u32_e32 v59, v59, v60
	s_nop 1
	v_mov_b32_dpp v60, v59 row_bcast:31 row_mask:0xf bank_mask:0xf
	v_cndmask_b32_e64 v60, 0, v60, s[24:25]
	v_add_u32_e32 v59, v59, v60
	v_lshrrev_b32_e32 v60, 6, v0
	v_cmp_eq_u32_e64 s[24:25], v0, v19
	s_and_saveexec_b64 s[26:27], s[24:25]
; %bb.50:
	v_lshlrev_b32_e32 v19, 2, v60
	ds_write_b32 v19, v59
; %bb.51:
	s_or_b64 exec, exec, s[26:27]
	v_cmp_gt_u32_e64 s[24:25], 4, v0
	s_waitcnt lgkmcnt(0)
	s_barrier
	s_and_saveexec_b64 s[26:27], s[24:25]
	s_cbranch_execz .LBB24_53
; %bb.52:
	v_lshlrev_b32_e32 v19, 2, v0
	ds_read_b32 v61, v19
	v_and_b32_e32 v62, 3, v10
	v_cmp_ne_u32_e64 s[24:25], 0, v62
	s_waitcnt lgkmcnt(0)
	v_mov_b32_dpp v63, v61 row_shr:1 row_mask:0xf bank_mask:0xf
	v_cndmask_b32_e64 v63, 0, v63, s[24:25]
	v_add_u32_e32 v61, v63, v61
	v_cmp_lt_u32_e64 s[24:25], 1, v62
	s_nop 0
	v_mov_b32_dpp v63, v61 row_shr:2 row_mask:0xf bank_mask:0xf
	v_cndmask_b32_e64 v62, 0, v63, s[24:25]
	v_add_u32_e32 v61, v61, v62
	ds_write_b32 v19, v61
.LBB24_53:
	s_or_b64 exec, exec, s[26:27]
	v_cmp_lt_u32_e64 s[24:25], 63, v0
	v_mov_b32_e32 v19, 0
	s_waitcnt lgkmcnt(0)
	s_barrier
	s_and_saveexec_b64 s[26:27], s[24:25]
; %bb.54:
	v_lshl_add_u32 v19, v60, 2, -4
	ds_read_b32 v19, v19
; %bb.55:
	s_or_b64 exec, exec, s[26:27]
	v_add_u32_e32 v60, -1, v10
	v_and_b32_e32 v61, 64, v10
	v_cmp_lt_i32_e64 s[24:25], v60, v61
	v_cndmask_b32_e64 v60, v60, v10, s[24:25]
	s_waitcnt lgkmcnt(0)
	v_add_u32_e32 v59, v19, v59
	v_lshlrev_b32_e32 v60, 2, v60
	ds_bpermute_b32 v59, v60, v59
	v_cmp_eq_u32_e64 s[24:25], 0, v10
	s_waitcnt lgkmcnt(0)
	v_cndmask_b32_e64 v19, v59, v19, s[24:25]
	v_cmp_ne_u32_e64 s[24:25], 0, v0
	v_cndmask_b32_e64 v19, 0, v19, s[24:25]
	v_add_u32_e32 v5, v19, v5
	v_add_u32_e32 v6, v5, v6
	;; [unrolled: 1-line block ×4, first 2 shown]
	ds_write2_b32 v22, v19, v5 offset0:4 offset1:5
	ds_write2_b32 v22, v6, v3 offset0:6 offset1:7
	ds_write_b32 v22, v4 offset:32
	s_waitcnt lgkmcnt(0)
	s_barrier
	ds_read_b32 v4, v25 offset:16
	ds_read_b32 v5, v42 offset:16
	;; [unrolled: 1-line block ×13, first 2 shown]
	v_add_u32_e32 v22, 1, v0
	s_movk_i32 s24, 0x100
	v_cmp_ne_u32_e64 s[24:25], s24, v22
	v_mov_b32_e32 v3, 0xc00
	s_and_saveexec_b64 s[26:27], s[24:25]
; %bb.56:
	v_mul_u32_u24_e32 v3, 20, v22
	ds_read_b32 v3, v3 offset:16
; %bb.57:
	s_or_b64 exec, exec, s[26:27]
	s_waitcnt lgkmcnt(12)
	v_add_u32_e32 v44, v4, v23
	s_waitcnt lgkmcnt(7)
	v_add3_u32 v43, v27, v24, v26
	v_lshlrev_b32_e32 v4, 2, v44
	s_waitcnt lgkmcnt(6)
	v_add3_u32 v42, v31, v28, v42
	s_waitcnt lgkmcnt(0)
	s_barrier
	ds_write_b32 v4, v8 offset:2048
	v_lshlrev_b32_e32 v4, 2, v43
	v_add3_u32 v41, v34, v32, v33
	ds_write_b32 v4, v7 offset:2048
	v_lshlrev_b32_e32 v4, 2, v42
	v_add3_u32 v40, v37, v35, v36
	;; [unrolled: 3-line block ×9, first 2 shown]
	ds_write_b32 v4, v17 offset:2048
	v_lshlrev_b32_e32 v4, 2, v34
	ds_write_b32 v4, v21 offset:2048
	v_lshlrev_b32_e32 v4, 2, v33
	ds_write_b32 v4, v20 offset:2048
	v_sub_u32_e32 v31, v3, v30
	v_lshl_or_b32 v3, s6, 8, v0
	v_mov_b32_e32 v4, 0
	v_lshlrev_b64 v[5:6], 2, v[3:4]
	v_mov_b32_e32 v11, s73
	v_add_co_u32_e64 v5, s[24:25], s72, v5
	v_addc_co_u32_e64 v6, s[24:25], v11, v6, s[24:25]
	v_or_b32_e32 v3, 2.0, v31
	s_mov_b64 s[26:27], 0
	s_brev_b32 s34, -4
	s_mov_b32 s35, s7
	v_mov_b32_e32 v12, 0
	s_waitcnt lgkmcnt(0)
	s_barrier
	global_store_dword v[5:6], v3, off
                                        ; implicit-def: $sgpr24_sgpr25
	s_branch .LBB24_60
.LBB24_58:                              ;   in Loop: Header=BB24_60 Depth=1
	s_or_b64 exec, exec, s[30:31]
.LBB24_59:                              ;   in Loop: Header=BB24_60 Depth=1
	s_or_b64 exec, exec, s[28:29]
	v_and_b32_e32 v7, 0x3fffffff, v3
	v_add_u32_e32 v12, v7, v12
	v_cmp_gt_i32_e64 s[24:25], -2.0, v3
	s_and_b64 s[28:29], exec, s[24:25]
	s_or_b64 s[26:27], s[28:29], s[26:27]
	s_andn2_b64 exec, exec, s[26:27]
	s_cbranch_execz .LBB24_65
.LBB24_60:                              ; =>This Loop Header: Depth=1
                                        ;     Child Loop BB24_63 Depth 2
	s_or_b64 s[24:25], s[24:25], exec
	s_cmp_eq_u32 s35, 0
	s_cbranch_scc1 .LBB24_64
; %bb.61:                               ;   in Loop: Header=BB24_60 Depth=1
	s_add_i32 s35, s35, -1
	v_lshl_or_b32 v3, s35, 8, v0
	v_lshlrev_b64 v[7:8], 2, v[3:4]
	v_add_co_u32_e64 v7, s[24:25], s72, v7
	v_addc_co_u32_e64 v8, s[24:25], v11, v8, s[24:25]
	global_load_dword v3, v[7:8], off glc
	s_waitcnt vmcnt(0)
	v_cmp_gt_u32_e64 s[24:25], 2.0, v3
	s_and_saveexec_b64 s[28:29], s[24:25]
	s_cbranch_execz .LBB24_59
; %bb.62:                               ;   in Loop: Header=BB24_60 Depth=1
	s_mov_b64 s[30:31], 0
.LBB24_63:                              ;   Parent Loop BB24_60 Depth=1
                                        ; =>  This Inner Loop Header: Depth=2
	global_load_dword v3, v[7:8], off glc
	s_waitcnt vmcnt(0)
	v_cmp_lt_u32_e64 s[24:25], s34, v3
	s_or_b64 s[30:31], s[24:25], s[30:31]
	s_andn2_b64 exec, exec, s[30:31]
	s_cbranch_execnz .LBB24_63
	s_branch .LBB24_58
.LBB24_64:                              ;   in Loop: Header=BB24_60 Depth=1
                                        ; implicit-def: $sgpr35
	s_and_b64 s[28:29], exec, s[24:25]
	s_or_b64 s[26:27], s[28:29], s[26:27]
	s_andn2_b64 exec, exec, s[26:27]
	s_cbranch_execnz .LBB24_60
.LBB24_65:
	s_or_b64 exec, exec, s[26:27]
	v_add_u32_e32 v3, v12, v31
	v_or_b32_e32 v3, 0x80000000, v3
	v_lshlrev_b32_e32 v32, 3, v0
	global_store_dword v[5:6], v3, off
	global_load_dwordx2 v[3:4], v32, s[64:65]
	v_sub_co_u32_e64 v5, s[24:25], v12, v30
	v_subb_co_u32_e64 v6, s[24:25], 0, 0, s[24:25]
	s_waitcnt vmcnt(0)
	v_add_co_u32_e64 v3, s[24:25], v5, v3
	v_addc_co_u32_e64 v4, s[24:25], v6, v4, s[24:25]
	v_cmp_gt_u32_e64 s[24:25], s70, v0
	ds_write_b64 v32, v[3:4]
	s_waitcnt lgkmcnt(0)
	s_barrier
	s_and_saveexec_b64 s[28:29], s[24:25]
	s_cbranch_execz .LBB24_67
; %bb.66:
	v_lshlrev_b32_e32 v5, 2, v0
	v_sub_u32_e32 v3, v32, v5
	ds_read_b32 v6, v3 offset:2048
	v_mov_b32_e32 v7, s59
	s_waitcnt lgkmcnt(0)
	v_lshrrev_b32_e32 v3, s68, v6
	v_and_b32_e32 v3, s74, v3
	v_lshlrev_b32_e32 v3, 3, v3
	ds_read_b64 v[3:4], v3
	s_waitcnt lgkmcnt(0)
	v_lshlrev_b64 v[3:4], 2, v[3:4]
	v_add_co_u32_e64 v3, s[26:27], s58, v3
	v_addc_co_u32_e64 v4, s[26:27], v7, v4, s[26:27]
	v_add_co_u32_e64 v3, s[26:27], v3, v5
	v_addc_co_u32_e64 v4, s[26:27], 0, v4, s[26:27]
	global_store_dword v[3:4], v6, off
.LBB24_67:
	s_or_b64 exec, exec, s[28:29]
	v_or_b32_e32 v3, 0x100, v0
	v_cmp_gt_u32_e64 s[26:27], s70, v3
	s_and_saveexec_b64 s[30:31], s[26:27]
	s_cbranch_execz .LBB24_69
; %bb.68:
	v_lshlrev_b32_e32 v5, 2, v0
	v_sub_u32_e32 v3, v32, v5
	ds_read_b32 v6, v3 offset:3072
	v_mov_b32_e32 v7, s59
	s_waitcnt lgkmcnt(0)
	v_lshrrev_b32_e32 v3, s68, v6
	v_and_b32_e32 v3, s74, v3
	v_lshlrev_b32_e32 v3, 3, v3
	ds_read_b64 v[3:4], v3
	s_waitcnt lgkmcnt(0)
	v_lshlrev_b64 v[3:4], 2, v[3:4]
	v_add_co_u32_e64 v3, s[28:29], s58, v3
	v_addc_co_u32_e64 v4, s[28:29], v7, v4, s[28:29]
	v_add_co_u32_e64 v3, s[28:29], v3, v5
	v_addc_co_u32_e64 v4, s[28:29], 0, v4, s[28:29]
	global_store_dword v[3:4], v6, off offset:1024
.LBB24_69:
	s_or_b64 exec, exec, s[30:31]
	v_or_b32_e32 v45, 0x200, v0
	v_cmp_gt_u32_e64 s[28:29], s70, v45
	s_and_saveexec_b64 s[34:35], s[28:29]
	s_cbranch_execz .LBB24_71
; %bb.70:
	v_lshlrev_b32_e32 v5, 2, v0
	v_sub_u32_e32 v3, v32, v5
	ds_read_b32 v6, v3 offset:4096
	v_mov_b32_e32 v7, s59
	s_waitcnt lgkmcnt(0)
	v_lshrrev_b32_e32 v3, s68, v6
	v_and_b32_e32 v3, s74, v3
	v_lshlrev_b32_e32 v3, 3, v3
	ds_read_b64 v[3:4], v3
	s_waitcnt lgkmcnt(0)
	v_lshlrev_b64 v[3:4], 2, v[3:4]
	v_add_co_u32_e64 v3, s[30:31], s58, v3
	v_addc_co_u32_e64 v4, s[30:31], v7, v4, s[30:31]
	v_add_co_u32_e64 v3, s[30:31], v3, v5
	v_addc_co_u32_e64 v4, s[30:31], 0, v4, s[30:31]
	global_store_dword v[3:4], v6, off offset:2048
.LBB24_71:
	;; [unrolled: 23-line block ×3, first 2 shown]
	s_or_b64 exec, exec, s[36:37]
	v_or_b32_e32 v47, 0x400, v0
	v_cmp_gt_u32_e64 s[34:35], s70, v47
	s_and_saveexec_b64 s[38:39], s[34:35]
	s_cbranch_execz .LBB24_75
; %bb.74:
	v_lshlrev_b32_e32 v3, 2, v0
	v_sub_u32_e32 v3, v32, v3
	ds_read_b32 v5, v3 offset:6144
	v_mov_b32_e32 v6, s59
	v_lshlrev_b32_e32 v7, 2, v47
	s_waitcnt lgkmcnt(0)
	v_lshrrev_b32_e32 v3, s68, v5
	v_and_b32_e32 v3, s74, v3
	v_lshlrev_b32_e32 v3, 3, v3
	ds_read_b64 v[3:4], v3
	s_waitcnt lgkmcnt(0)
	v_lshlrev_b64 v[3:4], 2, v[3:4]
	v_add_co_u32_e64 v3, s[36:37], s58, v3
	v_addc_co_u32_e64 v4, s[36:37], v6, v4, s[36:37]
	v_add_co_u32_e64 v3, s[36:37], v3, v7
	v_addc_co_u32_e64 v4, s[36:37], 0, v4, s[36:37]
	global_store_dword v[3:4], v5, off
.LBB24_75:
	s_or_b64 exec, exec, s[38:39]
	v_or_b32_e32 v48, 0x500, v0
	v_cmp_gt_u32_e64 s[36:37], s70, v48
	s_and_saveexec_b64 s[40:41], s[36:37]
	s_cbranch_execz .LBB24_77
; %bb.76:
	v_lshlrev_b32_e32 v3, 2, v0
	v_sub_u32_e32 v3, v32, v3
	ds_read_b32 v5, v3 offset:7168
	v_mov_b32_e32 v6, s59
	v_lshlrev_b32_e32 v7, 2, v48
	s_waitcnt lgkmcnt(0)
	v_lshrrev_b32_e32 v3, s68, v5
	v_and_b32_e32 v3, s74, v3
	v_lshlrev_b32_e32 v3, 3, v3
	ds_read_b64 v[3:4], v3
	s_waitcnt lgkmcnt(0)
	v_lshlrev_b64 v[3:4], 2, v[3:4]
	v_add_co_u32_e64 v3, s[38:39], s58, v3
	v_addc_co_u32_e64 v4, s[38:39], v6, v4, s[38:39]
	v_add_co_u32_e64 v3, s[38:39], v3, v7
	v_addc_co_u32_e64 v4, s[38:39], 0, v4, s[38:39]
	global_store_dword v[3:4], v5, off
.LBB24_77:
	;; [unrolled: 24-line block ×3, first 2 shown]
	s_or_b64 exec, exec, s[42:43]
	v_or_b32_e32 v50, 0x700, v0
	v_cmp_gt_u32_e64 s[40:41], s70, v50
	s_and_saveexec_b64 s[44:45], s[40:41]
	s_cbranch_execz .LBB24_81
; %bb.80:
	v_lshlrev_b32_e32 v3, 2, v0
	ds_read_b32 v5, v3 offset:9216
	v_mov_b32_e32 v6, s59
	v_lshlrev_b32_e32 v7, 2, v50
	s_waitcnt lgkmcnt(0)
	v_lshrrev_b32_e32 v3, s68, v5
	v_and_b32_e32 v3, s74, v3
	v_lshlrev_b32_e32 v3, 3, v3
	ds_read_b64 v[3:4], v3
	s_waitcnt lgkmcnt(0)
	v_lshlrev_b64 v[3:4], 2, v[3:4]
	v_add_co_u32_e64 v3, s[42:43], s58, v3
	v_addc_co_u32_e64 v4, s[42:43], v6, v4, s[42:43]
	v_add_co_u32_e64 v3, s[42:43], v3, v7
	v_addc_co_u32_e64 v4, s[42:43], 0, v4, s[42:43]
	global_store_dword v[3:4], v5, off
.LBB24_81:
	s_or_b64 exec, exec, s[44:45]
	v_or_b32_e32 v51, 0x800, v0
	v_cmp_gt_u32_e64 s[42:43], s70, v51
	s_and_saveexec_b64 s[46:47], s[42:43]
	s_cbranch_execz .LBB24_83
; %bb.82:
	v_lshlrev_b32_e32 v3, 2, v0
	ds_read_b32 v5, v3 offset:10240
	v_mov_b32_e32 v6, s59
	v_lshlrev_b32_e32 v7, 2, v51
	s_waitcnt lgkmcnt(0)
	v_lshrrev_b32_e32 v3, s68, v5
	v_and_b32_e32 v3, s74, v3
	v_lshlrev_b32_e32 v3, 3, v3
	ds_read_b64 v[3:4], v3
	s_waitcnt lgkmcnt(0)
	v_lshlrev_b64 v[3:4], 2, v[3:4]
	v_add_co_u32_e64 v3, s[44:45], s58, v3
	v_addc_co_u32_e64 v4, s[44:45], v6, v4, s[44:45]
	v_add_co_u32_e64 v3, s[44:45], v3, v7
	v_addc_co_u32_e64 v4, s[44:45], 0, v4, s[44:45]
	global_store_dword v[3:4], v5, off
.LBB24_83:
	;; [unrolled: 23-line block ×5, first 2 shown]
	s_or_b64 exec, exec, s[70:71]
	s_lshl_b64 s[52:53], s[54:55], 3
	s_add_u32 s52, s60, s52
	s_addc_u32 s53, s61, s53
	v_lshlrev_b32_e32 v3, 3, v10
	v_mov_b32_e32 v4, s53
	v_add_co_u32_e64 v3, s[52:53], s52, v3
	v_addc_co_u32_e64 v4, s[52:53], 0, v4, s[52:53]
	v_lshlrev_b32_e32 v5, 3, v9
	v_add_co_u32_e64 v27, s[52:53], v3, v5
	v_addc_co_u32_e64 v28, s[52:53], 0, v4, s[52:53]
                                        ; implicit-def: $vgpr3_vgpr4
	s_and_saveexec_b64 s[52:53], vcc
	s_xor_b64 s[52:53], exec, s[52:53]
	s_cbranch_execz .LBB24_101
; %bb.90:
	global_load_dwordx2 v[3:4], v[27:28], off
	s_or_b64 exec, exec, s[52:53]
                                        ; implicit-def: $vgpr5_vgpr6
	s_and_saveexec_b64 s[52:53], s[0:1]
	s_cbranch_execnz .LBB24_102
.LBB24_91:
	s_or_b64 exec, exec, s[52:53]
                                        ; implicit-def: $vgpr7_vgpr8
	s_and_saveexec_b64 s[0:1], s[2:3]
	s_cbranch_execz .LBB24_103
.LBB24_92:
	global_load_dwordx2 v[7:8], v[27:28], off offset:1024
	s_or_b64 exec, exec, s[0:1]
                                        ; implicit-def: $vgpr9_vgpr10
	s_and_saveexec_b64 s[0:1], s[50:51]
	s_cbranch_execnz .LBB24_104
.LBB24_93:
	s_or_b64 exec, exec, s[0:1]
                                        ; implicit-def: $vgpr11_vgpr12
	s_and_saveexec_b64 s[0:1], s[8:9]
	s_cbranch_execz .LBB24_105
.LBB24_94:
	global_load_dwordx2 v[11:12], v[27:28], off offset:2048
	s_or_b64 exec, exec, s[0:1]
                                        ; implicit-def: $vgpr13_vgpr14
	s_and_saveexec_b64 s[0:1], s[12:13]
	s_cbranch_execnz .LBB24_106
.LBB24_95:
	s_or_b64 exec, exec, s[0:1]
                                        ; implicit-def: $vgpr15_vgpr16
	s_and_saveexec_b64 s[0:1], s[16:17]
	s_cbranch_execz .LBB24_107
.LBB24_96:
	global_load_dwordx2 v[15:16], v[27:28], off offset:3072
	s_or_b64 exec, exec, s[0:1]
                                        ; implicit-def: $vgpr17_vgpr18
	s_and_saveexec_b64 s[0:1], s[20:21]
	s_cbranch_execnz .LBB24_108
.LBB24_97:
	s_or_b64 exec, exec, s[0:1]
                                        ; implicit-def: $vgpr19_vgpr20
	s_and_saveexec_b64 s[0:1], s[22:23]
	s_cbranch_execz .LBB24_109
.LBB24_98:
	v_add_co_u32_e32 v19, vcc, 0x1000, v27
	v_addc_co_u32_e32 v20, vcc, 0, v28, vcc
	global_load_dwordx2 v[19:20], v[19:20], off
	s_or_b64 exec, exec, s[0:1]
                                        ; implicit-def: $vgpr21_vgpr22
	s_and_saveexec_b64 s[0:1], s[18:19]
	s_cbranch_execnz .LBB24_110
.LBB24_99:
	s_or_b64 exec, exec, s[0:1]
                                        ; implicit-def: $vgpr23_vgpr24
	s_and_saveexec_b64 s[0:1], s[14:15]
	s_cbranch_execz .LBB24_111
.LBB24_100:
	v_add_co_u32_e32 v23, vcc, 0x1000, v27
	v_addc_co_u32_e32 v24, vcc, 0, v28, vcc
	global_load_dwordx2 v[23:24], v[23:24], off offset:1024
	s_or_b64 exec, exec, s[0:1]
                                        ; implicit-def: $vgpr25_vgpr26
	s_and_saveexec_b64 s[0:1], s[10:11]
	s_cbranch_execnz .LBB24_112
	s_branch .LBB24_113
.LBB24_101:
	s_or_b64 exec, exec, s[52:53]
                                        ; implicit-def: $vgpr5_vgpr6
	s_and_saveexec_b64 s[52:53], s[0:1]
	s_cbranch_execz .LBB24_91
.LBB24_102:
	global_load_dwordx2 v[5:6], v[27:28], off offset:512
	s_or_b64 exec, exec, s[52:53]
                                        ; implicit-def: $vgpr7_vgpr8
	s_and_saveexec_b64 s[0:1], s[2:3]
	s_cbranch_execnz .LBB24_92
.LBB24_103:
	s_or_b64 exec, exec, s[0:1]
                                        ; implicit-def: $vgpr9_vgpr10
	s_and_saveexec_b64 s[0:1], s[50:51]
	s_cbranch_execz .LBB24_93
.LBB24_104:
	global_load_dwordx2 v[9:10], v[27:28], off offset:1536
	s_or_b64 exec, exec, s[0:1]
                                        ; implicit-def: $vgpr11_vgpr12
	s_and_saveexec_b64 s[0:1], s[8:9]
	s_cbranch_execnz .LBB24_94
.LBB24_105:
	s_or_b64 exec, exec, s[0:1]
                                        ; implicit-def: $vgpr13_vgpr14
	s_and_saveexec_b64 s[0:1], s[12:13]
	s_cbranch_execz .LBB24_95
.LBB24_106:
	global_load_dwordx2 v[13:14], v[27:28], off offset:2560
	s_or_b64 exec, exec, s[0:1]
                                        ; implicit-def: $vgpr15_vgpr16
	s_and_saveexec_b64 s[0:1], s[16:17]
	s_cbranch_execnz .LBB24_96
.LBB24_107:
	s_or_b64 exec, exec, s[0:1]
                                        ; implicit-def: $vgpr17_vgpr18
	s_and_saveexec_b64 s[0:1], s[20:21]
	s_cbranch_execz .LBB24_97
.LBB24_108:
	global_load_dwordx2 v[17:18], v[27:28], off offset:3584
	s_or_b64 exec, exec, s[0:1]
                                        ; implicit-def: $vgpr19_vgpr20
	s_and_saveexec_b64 s[0:1], s[22:23]
	s_cbranch_execnz .LBB24_98
.LBB24_109:
	s_or_b64 exec, exec, s[0:1]
                                        ; implicit-def: $vgpr21_vgpr22
	s_and_saveexec_b64 s[0:1], s[18:19]
	s_cbranch_execz .LBB24_99
.LBB24_110:
	v_add_co_u32_e32 v21, vcc, 0x1000, v27
	v_addc_co_u32_e32 v22, vcc, 0, v28, vcc
	global_load_dwordx2 v[21:22], v[21:22], off offset:512
	s_or_b64 exec, exec, s[0:1]
                                        ; implicit-def: $vgpr23_vgpr24
	s_and_saveexec_b64 s[0:1], s[14:15]
	s_cbranch_execnz .LBB24_100
.LBB24_111:
	s_or_b64 exec, exec, s[0:1]
                                        ; implicit-def: $vgpr25_vgpr26
	s_and_saveexec_b64 s[0:1], s[10:11]
	s_cbranch_execz .LBB24_113
.LBB24_112:
	v_add_co_u32_e32 v25, vcc, 0x1000, v27
	v_addc_co_u32_e32 v26, vcc, 0, v28, vcc
	global_load_dwordx2 v[25:26], v[25:26], off offset:1536
.LBB24_113:
	s_or_b64 exec, exec, s[0:1]
	v_mov_b32_e32 v62, 0
	v_mov_b32_e32 v64, 0
	s_and_saveexec_b64 s[0:1], s[24:25]
	s_cbranch_execz .LBB24_115
; %bb.114:
	v_lshlrev_b32_e32 v27, 2, v0
	ds_read_b32 v27, v27 offset:2048
	s_waitcnt lgkmcnt(0)
	v_lshrrev_b32_e32 v27, s68, v27
	v_and_b32_e32 v64, s74, v27
.LBB24_115:
	s_or_b64 exec, exec, s[0:1]
	s_and_saveexec_b64 s[0:1], s[26:27]
	s_cbranch_execz .LBB24_117
; %bb.116:
	v_lshlrev_b32_e32 v27, 2, v0
	ds_read_b32 v27, v27 offset:3072
	s_waitcnt lgkmcnt(0)
	v_lshrrev_b32_e32 v27, s68, v27
	v_and_b32_e32 v62, s74, v27
.LBB24_117:
	s_or_b64 exec, exec, s[0:1]
	v_mov_b32_e32 v60, 0
	v_mov_b32_e32 v63, 0
	s_and_saveexec_b64 s[0:1], s[28:29]
	s_cbranch_execz .LBB24_119
; %bb.118:
	v_lshlrev_b32_e32 v27, 2, v0
	ds_read_b32 v27, v27 offset:4096
	s_waitcnt lgkmcnt(0)
	v_lshrrev_b32_e32 v27, s68, v27
	v_and_b32_e32 v63, s74, v27
.LBB24_119:
	s_or_b64 exec, exec, s[0:1]
	s_and_saveexec_b64 s[0:1], s[30:31]
	s_cbranch_execz .LBB24_121
; %bb.120:
	v_lshlrev_b32_e32 v27, 2, v0
	ds_read_b32 v27, v27 offset:5120
	s_waitcnt lgkmcnt(0)
	v_lshrrev_b32_e32 v27, s68, v27
	v_and_b32_e32 v60, s74, v27
.LBB24_121:
	;; [unrolled: 22-line block ×6, first 2 shown]
	s_or_b64 exec, exec, s[0:1]
	v_lshlrev_b32_e32 v44, 3, v44
	s_waitcnt vmcnt(0)
	s_barrier
	ds_write_b64 v44, v[3:4] offset:2048
	v_lshlrev_b32_e32 v3, 3, v43
	ds_write_b64 v3, v[5:6] offset:2048
	v_lshlrev_b32_e32 v3, 3, v42
	;; [unrolled: 2-line block ×11, first 2 shown]
	ds_write_b64 v3, v[25:26] offset:2048
	s_waitcnt lgkmcnt(0)
	s_barrier
	s_and_saveexec_b64 s[0:1], s[24:25]
	s_cbranch_execz .LBB24_196
; %bb.138:
	v_lshlrev_b32_e32 v3, 3, v64
	ds_read_b64 v[3:4], v3
	ds_read_b64 v[5:6], v32 offset:2048
	v_mov_b32_e32 v7, s63
	s_waitcnt lgkmcnt(1)
	v_lshlrev_b64 v[3:4], 3, v[3:4]
	v_add_co_u32_e32 v3, vcc, s62, v3
	v_addc_co_u32_e32 v4, vcc, v7, v4, vcc
	v_add_co_u32_e32 v3, vcc, v3, v32
	v_addc_co_u32_e32 v4, vcc, 0, v4, vcc
	s_waitcnt lgkmcnt(0)
	global_store_dwordx2 v[3:4], v[5:6], off
	s_or_b64 exec, exec, s[0:1]
	s_and_saveexec_b64 s[0:1], s[26:27]
	s_cbranch_execnz .LBB24_197
.LBB24_139:
	s_or_b64 exec, exec, s[0:1]
	s_and_saveexec_b64 s[0:1], s[28:29]
	s_cbranch_execz .LBB24_198
.LBB24_140:
	v_lshlrev_b32_e32 v3, 3, v63
	ds_read_b64 v[3:4], v3
	ds_read_b64 v[5:6], v32 offset:6144
	v_mov_b32_e32 v7, s63
	s_waitcnt lgkmcnt(1)
	v_lshlrev_b64 v[3:4], 3, v[3:4]
	v_add_co_u32_e32 v3, vcc, s62, v3
	v_addc_co_u32_e32 v4, vcc, v7, v4, vcc
	v_lshlrev_b32_e32 v7, 3, v45
	v_add_co_u32_e32 v3, vcc, v3, v7
	v_addc_co_u32_e32 v4, vcc, 0, v4, vcc
	s_waitcnt lgkmcnt(0)
	global_store_dwordx2 v[3:4], v[5:6], off
	s_or_b64 exec, exec, s[0:1]
	s_and_saveexec_b64 s[0:1], s[30:31]
	s_cbranch_execnz .LBB24_199
.LBB24_141:
	s_or_b64 exec, exec, s[0:1]
	s_and_saveexec_b64 s[0:1], s[34:35]
	s_cbranch_execz .LBB24_200
.LBB24_142:
	v_lshlrev_b32_e32 v3, 3, v61
	ds_read_b64 v[3:4], v3
	ds_read_b64 v[5:6], v32 offset:10240
	v_mov_b32_e32 v7, s63
	s_waitcnt lgkmcnt(1)
	v_lshlrev_b64 v[3:4], 3, v[3:4]
	v_add_co_u32_e32 v3, vcc, s62, v3
	v_addc_co_u32_e32 v4, vcc, v7, v4, vcc
	v_lshlrev_b32_e32 v7, 3, v47
	v_add_co_u32_e32 v3, vcc, v3, v7
	v_addc_co_u32_e32 v4, vcc, 0, v4, vcc
	s_waitcnt lgkmcnt(0)
	global_store_dwordx2 v[3:4], v[5:6], off
	s_or_b64 exec, exec, s[0:1]
	s_and_saveexec_b64 s[0:1], s[36:37]
	s_cbranch_execnz .LBB24_201
.LBB24_143:
	s_or_b64 exec, exec, s[0:1]
	s_and_saveexec_b64 s[0:1], s[38:39]
	s_cbranch_execz .LBB24_202
.LBB24_144:
	v_lshlrev_b32_e32 v3, 3, v59
	ds_read_b64 v[3:4], v3
	ds_read_b64 v[5:6], v32 offset:14336
	v_mov_b32_e32 v7, s63
	s_waitcnt lgkmcnt(1)
	v_lshlrev_b64 v[3:4], 3, v[3:4]
	v_add_co_u32_e32 v3, vcc, s62, v3
	v_addc_co_u32_e32 v4, vcc, v7, v4, vcc
	v_lshlrev_b32_e32 v7, 3, v49
	v_add_co_u32_e32 v3, vcc, v3, v7
	v_addc_co_u32_e32 v4, vcc, 0, v4, vcc
	s_waitcnt lgkmcnt(0)
	global_store_dwordx2 v[3:4], v[5:6], off
	s_or_b64 exec, exec, s[0:1]
	s_and_saveexec_b64 s[0:1], s[40:41]
	s_cbranch_execnz .LBB24_203
.LBB24_145:
	s_or_b64 exec, exec, s[0:1]
	s_and_saveexec_b64 s[0:1], s[42:43]
	s_cbranch_execz .LBB24_204
.LBB24_146:
	v_lshlrev_b32_e32 v3, 3, v57
	ds_read_b64 v[3:4], v3
	ds_read_b64 v[5:6], v32 offset:18432
	v_mov_b32_e32 v7, s63
	s_waitcnt lgkmcnt(1)
	v_lshlrev_b64 v[3:4], 3, v[3:4]
	v_add_co_u32_e32 v3, vcc, s62, v3
	v_addc_co_u32_e32 v4, vcc, v7, v4, vcc
	v_lshlrev_b32_e32 v7, 3, v51
	v_add_co_u32_e32 v3, vcc, v3, v7
	v_addc_co_u32_e32 v4, vcc, 0, v4, vcc
	s_waitcnt lgkmcnt(0)
	global_store_dwordx2 v[3:4], v[5:6], off
	s_or_b64 exec, exec, s[0:1]
	s_and_saveexec_b64 s[0:1], s[44:45]
	s_cbranch_execnz .LBB24_205
.LBB24_147:
	s_or_b64 exec, exec, s[0:1]
	s_and_saveexec_b64 s[0:1], s[46:47]
	s_cbranch_execz .LBB24_206
.LBB24_148:
	v_lshlrev_b32_e32 v3, 3, v55
	ds_read_b64 v[3:4], v3
	ds_read_b64 v[5:6], v32 offset:22528
	v_mov_b32_e32 v7, s63
	s_waitcnt lgkmcnt(1)
	v_lshlrev_b64 v[3:4], 3, v[3:4]
	v_add_co_u32_e32 v3, vcc, s62, v3
	v_addc_co_u32_e32 v4, vcc, v7, v4, vcc
	v_lshlrev_b32_e32 v7, 3, v53
	v_add_co_u32_e32 v3, vcc, v3, v7
	v_addc_co_u32_e32 v4, vcc, 0, v4, vcc
	s_waitcnt lgkmcnt(0)
	global_store_dwordx2 v[3:4], v[5:6], off
	s_or_b64 exec, exec, s[0:1]
	s_and_saveexec_b64 s[0:1], s[48:49]
	s_cbranch_execnz .LBB24_207
.LBB24_149:
	s_or_b64 exec, exec, s[0:1]
	s_add_i32 s33, s33, -1
	s_cmp_eq_u32 s6, s33
	s_cbranch_scc0 .LBB24_151
.LBB24_150:
	ds_read_b64 v[3:4], v32
	v_add_co_u32_e32 v5, vcc, v31, v30
	v_addc_co_u32_e64 v6, s[0:1], 0, 0, vcc
	s_waitcnt lgkmcnt(0)
	v_add_co_u32_e32 v3, vcc, v5, v3
	v_addc_co_u32_e32 v4, vcc, v6, v4, vcc
	global_store_dwordx2 v32, v[3:4], s[66:67]
.LBB24_151:
	s_mov_b64 s[0:1], 0
.LBB24_152:
	s_and_b64 vcc, exec, s[0:1]
	s_cbranch_vccz .LBB24_195
; %bb.153:
	s_mov_b32 s55, 0
	s_lshl_b64 s[0:1], s[54:55], 2
	v_mbcnt_hi_u32_b32 v8, -1, v29
	s_add_u32 s0, s56, s0
	v_lshlrev_b32_e32 v4, 2, v8
	v_add_co_u32_e32 v4, vcc, s0, v4
	s_load_dword s8, s[4:5], 0x50
	s_load_dword s0, s[4:5], 0x5c
	s_addc_u32 s1, s57, s1
	v_and_b32_e32 v20, 0xc0, v0
	v_mul_u32_u24_e32 v7, 12, v20
	v_mov_b32_e32 v5, s1
	s_add_u32 s1, s4, 0x50
	v_addc_co_u32_e32 v5, vcc, 0, v5, vcc
	v_lshlrev_b32_e32 v6, 2, v7
	s_addc_u32 s2, s5, 0
	s_waitcnt lgkmcnt(0)
	s_lshr_b32 s3, s0, 16
	v_add_co_u32_e32 v21, vcc, v4, v6
	s_cmp_lt_u32 s6, s8
	v_addc_co_u32_e32 v22, vcc, 0, v5, vcc
	s_cselect_b32 s0, 12, 18
	global_load_dword v5, v[21:22], off
	s_add_u32 s0, s1, s0
	v_mov_b32_e32 v3, 0
	s_addc_u32 s1, s2, 0
	global_load_ushort v23, v3, s[0:1]
	v_mul_u32_u24_e32 v19, 20, v0
	ds_write2_b32 v19, v3, v3 offset0:4 offset1:5
	ds_write2_b32 v19, v3, v3 offset0:6 offset1:7
	ds_write_b32 v19, v3 offset:32
	global_load_dword v18, v[21:22], off offset:256
	global_load_dword v17, v[21:22], off offset:512
	;; [unrolled: 1-line block ×11, first 2 shown]
	s_lshl_b32 s0, -1, s69
	v_mad_u32_u24 v1, v2, s3, v1
	s_not_b32 s9, s0
	s_waitcnt vmcnt(0) lgkmcnt(0)
	s_barrier
	; wave barrier
	v_lshrrev_b32_e32 v2, s68, v5
	v_and_b32_e32 v21, s9, v2
	v_and_b32_e32 v24, 1, v21
	v_lshlrev_b32_e32 v4, 30, v21
	v_mad_u64_u32 v[1:2], s[0:1], v1, v23, v[0:1]
	v_add_co_u32_e32 v2, vcc, -1, v24
	v_addc_co_u32_e64 v23, s[0:1], 0, -1, vcc
	v_cmp_ne_u32_e32 vcc, 0, v24
	v_cmp_gt_i64_e64 s[0:1], 0, v[3:4]
	v_not_b32_e32 v24, v4
	v_lshlrev_b32_e32 v4, 29, v21
	v_xor_b32_e32 v23, vcc_hi, v23
	v_xor_b32_e32 v2, vcc_lo, v2
	v_ashrrev_i32_e32 v24, 31, v24
	v_cmp_gt_i64_e32 vcc, 0, v[3:4]
	v_not_b32_e32 v25, v4
	v_lshlrev_b32_e32 v4, 28, v21
	v_and_b32_e32 v23, exec_hi, v23
	v_and_b32_e32 v2, exec_lo, v2
	v_xor_b32_e32 v26, s1, v24
	v_xor_b32_e32 v24, s0, v24
	v_ashrrev_i32_e32 v25, 31, v25
	v_cmp_gt_i64_e64 s[0:1], 0, v[3:4]
	v_not_b32_e32 v27, v4
	v_lshlrev_b32_e32 v4, 27, v21
	v_and_b32_e32 v23, v23, v26
	v_and_b32_e32 v2, v2, v24
	v_xor_b32_e32 v24, vcc_hi, v25
	v_xor_b32_e32 v25, vcc_lo, v25
	v_ashrrev_i32_e32 v26, 31, v27
	v_cmp_gt_i64_e32 vcc, 0, v[3:4]
	v_not_b32_e32 v4, v4
	v_lshrrev_b32_e32 v1, 4, v1
	v_and_b32_e32 v23, v23, v24
	v_and_b32_e32 v2, v2, v25
	v_xor_b32_e32 v24, s1, v26
	v_xor_b32_e32 v25, s0, v26
	v_ashrrev_i32_e32 v4, 31, v4
	v_and_b32_e32 v28, 0xffffffc, v1
	v_and_b32_e32 v1, v23, v24
	;; [unrolled: 1-line block ×3, first 2 shown]
	v_xor_b32_e32 v23, vcc_hi, v4
	v_xor_b32_e32 v4, vcc_lo, v4
	v_and_b32_e32 v2, v2, v4
	v_lshlrev_b32_e32 v4, 26, v21
	v_cmp_gt_i64_e32 vcc, 0, v[3:4]
	v_not_b32_e32 v4, v4
	v_ashrrev_i32_e32 v4, 31, v4
	v_and_b32_e32 v1, v1, v23
	v_xor_b32_e32 v23, vcc_hi, v4
	v_xor_b32_e32 v4, vcc_lo, v4
	v_and_b32_e32 v2, v2, v4
	v_lshlrev_b32_e32 v4, 25, v21
	v_cmp_gt_i64_e32 vcc, 0, v[3:4]
	v_not_b32_e32 v4, v4
	v_ashrrev_i32_e32 v4, 31, v4
	v_and_b32_e32 v1, v1, v23
	v_xor_b32_e32 v23, vcc_hi, v4
	v_xor_b32_e32 v4, vcc_lo, v4
	v_and_b32_e32 v1, v1, v23
	v_and_b32_e32 v23, v2, v4
	v_lshlrev_b32_e32 v4, 24, v21
	v_cmp_gt_i64_e32 vcc, 0, v[3:4]
	v_not_b32_e32 v2, v4
	v_ashrrev_i32_e32 v2, 31, v2
	v_mul_lo_u32 v22, v21, 20
	v_xor_b32_e32 v4, vcc_hi, v2
	v_xor_b32_e32 v21, vcc_lo, v2
	v_and_b32_e32 v2, v1, v4
	v_and_b32_e32 v1, v23, v21
	v_mbcnt_lo_u32_b32 v4, v1, 0
	v_mbcnt_hi_u32_b32 v21, v2, v4
	v_cmp_ne_u64_e32 vcc, 0, v[1:2]
	v_cmp_eq_u32_e64 s[0:1], 0, v21
	s_and_b64 s[2:3], vcc, s[0:1]
	v_add_u32_e32 v23, v28, v22
	s_and_saveexec_b64 s[0:1], s[2:3]
; %bb.154:
	v_bcnt_u32_b32 v1, v1, 0
	v_bcnt_u32_b32 v1, v2, v1
	ds_write_b32 v23, v1 offset:16
; %bb.155:
	s_or_b64 exec, exec, s[0:1]
	v_lshrrev_b32_e32 v1, s68, v18
	v_and_b32_e32 v1, s9, v1
	v_mul_lo_u32 v2, v1, 20
	v_and_b32_e32 v4, 1, v1
	; wave barrier
	v_add_u32_e32 v24, v28, v2
	v_add_co_u32_e32 v2, vcc, -1, v4
	v_addc_co_u32_e64 v25, s[0:1], 0, -1, vcc
	v_cmp_ne_u32_e32 vcc, 0, v4
	v_xor_b32_e32 v4, vcc_hi, v25
	v_and_b32_e32 v25, exec_hi, v4
	v_lshlrev_b32_e32 v4, 30, v1
	v_xor_b32_e32 v2, vcc_lo, v2
	v_cmp_gt_i64_e32 vcc, 0, v[3:4]
	v_not_b32_e32 v4, v4
	v_ashrrev_i32_e32 v4, 31, v4
	v_and_b32_e32 v2, exec_lo, v2
	v_xor_b32_e32 v26, vcc_hi, v4
	v_xor_b32_e32 v4, vcc_lo, v4
	v_and_b32_e32 v2, v2, v4
	v_lshlrev_b32_e32 v4, 29, v1
	v_cmp_gt_i64_e32 vcc, 0, v[3:4]
	v_not_b32_e32 v4, v4
	v_ashrrev_i32_e32 v4, 31, v4
	v_and_b32_e32 v25, v25, v26
	v_xor_b32_e32 v26, vcc_hi, v4
	v_xor_b32_e32 v4, vcc_lo, v4
	v_and_b32_e32 v2, v2, v4
	v_lshlrev_b32_e32 v4, 28, v1
	v_cmp_gt_i64_e32 vcc, 0, v[3:4]
	v_not_b32_e32 v4, v4
	v_ashrrev_i32_e32 v4, 31, v4
	v_and_b32_e32 v25, v25, v26
	;; [unrolled: 8-line block ×5, first 2 shown]
	v_xor_b32_e32 v26, vcc_hi, v4
	v_xor_b32_e32 v4, vcc_lo, v4
	v_and_b32_e32 v25, v25, v26
	v_and_b32_e32 v26, v2, v4
	v_lshlrev_b32_e32 v4, 24, v1
	v_cmp_gt_i64_e32 vcc, 0, v[3:4]
	v_not_b32_e32 v1, v4
	v_ashrrev_i32_e32 v1, 31, v1
	v_xor_b32_e32 v2, vcc_hi, v1
	v_xor_b32_e32 v1, vcc_lo, v1
	ds_read_b32 v22, v24 offset:16
	v_and_b32_e32 v1, v26, v1
	v_and_b32_e32 v2, v25, v2
	v_mbcnt_lo_u32_b32 v3, v1, 0
	v_mbcnt_hi_u32_b32 v25, v2, v3
	v_cmp_ne_u64_e32 vcc, 0, v[1:2]
	v_cmp_eq_u32_e64 s[0:1], 0, v25
	s_and_b64 s[2:3], vcc, s[0:1]
	; wave barrier
	s_and_saveexec_b64 s[0:1], s[2:3]
	s_cbranch_execz .LBB24_157
; %bb.156:
	v_bcnt_u32_b32 v1, v1, 0
	v_bcnt_u32_b32 v1, v2, v1
	s_waitcnt lgkmcnt(0)
	v_add_u32_e32 v1, v22, v1
	ds_write_b32 v24, v1 offset:16
.LBB24_157:
	s_or_b64 exec, exec, s[0:1]
	v_lshrrev_b32_e32 v1, s68, v17
	v_and_b32_e32 v3, s9, v1
	v_mul_lo_u32 v1, v3, 20
	v_and_b32_e32 v2, 1, v3
	v_add_co_u32_e32 v4, vcc, -1, v2
	v_addc_co_u32_e64 v29, s[0:1], 0, -1, vcc
	v_cmp_ne_u32_e32 vcc, 0, v2
	v_xor_b32_e32 v2, vcc_hi, v29
	v_add_u32_e32 v27, v28, v1
	v_mov_b32_e32 v1, 0
	v_and_b32_e32 v29, exec_hi, v2
	v_lshlrev_b32_e32 v2, 30, v3
	v_xor_b32_e32 v4, vcc_lo, v4
	v_cmp_gt_i64_e32 vcc, 0, v[1:2]
	v_not_b32_e32 v2, v2
	v_ashrrev_i32_e32 v2, 31, v2
	v_and_b32_e32 v4, exec_lo, v4
	v_xor_b32_e32 v30, vcc_hi, v2
	v_xor_b32_e32 v2, vcc_lo, v2
	v_and_b32_e32 v4, v4, v2
	v_lshlrev_b32_e32 v2, 29, v3
	v_cmp_gt_i64_e32 vcc, 0, v[1:2]
	v_not_b32_e32 v2, v2
	v_ashrrev_i32_e32 v2, 31, v2
	v_and_b32_e32 v29, v29, v30
	v_xor_b32_e32 v30, vcc_hi, v2
	v_xor_b32_e32 v2, vcc_lo, v2
	v_and_b32_e32 v4, v4, v2
	v_lshlrev_b32_e32 v2, 28, v3
	v_cmp_gt_i64_e32 vcc, 0, v[1:2]
	v_not_b32_e32 v2, v2
	v_ashrrev_i32_e32 v2, 31, v2
	v_and_b32_e32 v29, v29, v30
	;; [unrolled: 8-line block ×5, first 2 shown]
	v_xor_b32_e32 v30, vcc_hi, v2
	v_xor_b32_e32 v2, vcc_lo, v2
	v_and_b32_e32 v4, v4, v2
	v_lshlrev_b32_e32 v2, 24, v3
	v_cmp_gt_i64_e32 vcc, 0, v[1:2]
	v_not_b32_e32 v2, v2
	v_ashrrev_i32_e32 v2, 31, v2
	v_xor_b32_e32 v3, vcc_hi, v2
	v_xor_b32_e32 v2, vcc_lo, v2
	; wave barrier
	ds_read_b32 v26, v27 offset:16
	v_and_b32_e32 v29, v29, v30
	v_and_b32_e32 v2, v4, v2
	;; [unrolled: 1-line block ×3, first 2 shown]
	v_mbcnt_lo_u32_b32 v4, v2, 0
	v_mbcnt_hi_u32_b32 v29, v3, v4
	v_cmp_ne_u64_e32 vcc, 0, v[2:3]
	v_cmp_eq_u32_e64 s[0:1], 0, v29
	s_and_b64 s[2:3], vcc, s[0:1]
	; wave barrier
	s_and_saveexec_b64 s[0:1], s[2:3]
	s_cbranch_execz .LBB24_159
; %bb.158:
	v_bcnt_u32_b32 v2, v2, 0
	v_bcnt_u32_b32 v2, v3, v2
	s_waitcnt lgkmcnt(0)
	v_add_u32_e32 v2, v26, v2
	ds_write_b32 v27, v2 offset:16
.LBB24_159:
	s_or_b64 exec, exec, s[0:1]
	v_lshrrev_b32_e32 v2, s68, v16
	v_and_b32_e32 v3, s9, v2
	v_mul_lo_u32 v2, v3, 20
	v_and_b32_e32 v4, 1, v3
	; wave barrier
	v_add_u32_e32 v31, v28, v2
	v_add_co_u32_e32 v2, vcc, -1, v4
	v_addc_co_u32_e64 v32, s[0:1], 0, -1, vcc
	v_cmp_ne_u32_e32 vcc, 0, v4
	v_xor_b32_e32 v2, vcc_lo, v2
	v_xor_b32_e32 v4, vcc_hi, v32
	v_and_b32_e32 v32, exec_lo, v2
	v_lshlrev_b32_e32 v2, 30, v3
	v_cmp_gt_i64_e32 vcc, 0, v[1:2]
	v_not_b32_e32 v2, v2
	v_ashrrev_i32_e32 v2, 31, v2
	v_xor_b32_e32 v33, vcc_hi, v2
	v_xor_b32_e32 v2, vcc_lo, v2
	v_and_b32_e32 v32, v32, v2
	v_lshlrev_b32_e32 v2, 29, v3
	v_cmp_gt_i64_e32 vcc, 0, v[1:2]
	v_not_b32_e32 v2, v2
	v_and_b32_e32 v4, exec_hi, v4
	v_ashrrev_i32_e32 v2, 31, v2
	v_and_b32_e32 v4, v4, v33
	v_xor_b32_e32 v33, vcc_hi, v2
	v_xor_b32_e32 v2, vcc_lo, v2
	v_and_b32_e32 v32, v32, v2
	v_lshlrev_b32_e32 v2, 28, v3
	v_cmp_gt_i64_e32 vcc, 0, v[1:2]
	v_not_b32_e32 v2, v2
	v_ashrrev_i32_e32 v2, 31, v2
	v_and_b32_e32 v4, v4, v33
	v_xor_b32_e32 v33, vcc_hi, v2
	v_xor_b32_e32 v2, vcc_lo, v2
	v_and_b32_e32 v32, v32, v2
	v_lshlrev_b32_e32 v2, 27, v3
	v_cmp_gt_i64_e32 vcc, 0, v[1:2]
	v_not_b32_e32 v2, v2
	;; [unrolled: 8-line block ×5, first 2 shown]
	v_ashrrev_i32_e32 v1, 31, v1
	v_xor_b32_e32 v2, vcc_hi, v1
	v_xor_b32_e32 v1, vcc_lo, v1
	ds_read_b32 v30, v31 offset:16
	v_and_b32_e32 v4, v4, v33
	v_and_b32_e32 v1, v32, v1
	;; [unrolled: 1-line block ×3, first 2 shown]
	v_mbcnt_lo_u32_b32 v3, v1, 0
	v_mbcnt_hi_u32_b32 v32, v2, v3
	v_cmp_ne_u64_e32 vcc, 0, v[1:2]
	v_cmp_eq_u32_e64 s[0:1], 0, v32
	s_and_b64 s[2:3], vcc, s[0:1]
	; wave barrier
	s_and_saveexec_b64 s[0:1], s[2:3]
	s_cbranch_execz .LBB24_161
; %bb.160:
	v_bcnt_u32_b32 v1, v1, 0
	v_bcnt_u32_b32 v1, v2, v1
	s_waitcnt lgkmcnt(0)
	v_add_u32_e32 v1, v30, v1
	ds_write_b32 v31, v1 offset:16
.LBB24_161:
	s_or_b64 exec, exec, s[0:1]
	v_lshrrev_b32_e32 v1, s68, v15
	v_and_b32_e32 v3, s9, v1
	v_mul_lo_u32 v1, v3, 20
	v_and_b32_e32 v2, 1, v3
	v_add_co_u32_e32 v4, vcc, -1, v2
	v_addc_co_u32_e64 v35, s[0:1], 0, -1, vcc
	v_cmp_ne_u32_e32 vcc, 0, v2
	v_xor_b32_e32 v2, vcc_hi, v35
	v_add_u32_e32 v34, v28, v1
	v_mov_b32_e32 v1, 0
	v_and_b32_e32 v35, exec_hi, v2
	v_lshlrev_b32_e32 v2, 30, v3
	v_xor_b32_e32 v4, vcc_lo, v4
	v_cmp_gt_i64_e32 vcc, 0, v[1:2]
	v_not_b32_e32 v2, v2
	v_ashrrev_i32_e32 v2, 31, v2
	v_and_b32_e32 v4, exec_lo, v4
	v_xor_b32_e32 v36, vcc_hi, v2
	v_xor_b32_e32 v2, vcc_lo, v2
	v_and_b32_e32 v4, v4, v2
	v_lshlrev_b32_e32 v2, 29, v3
	v_cmp_gt_i64_e32 vcc, 0, v[1:2]
	v_not_b32_e32 v2, v2
	v_ashrrev_i32_e32 v2, 31, v2
	v_and_b32_e32 v35, v35, v36
	v_xor_b32_e32 v36, vcc_hi, v2
	v_xor_b32_e32 v2, vcc_lo, v2
	v_and_b32_e32 v4, v4, v2
	v_lshlrev_b32_e32 v2, 28, v3
	v_cmp_gt_i64_e32 vcc, 0, v[1:2]
	v_not_b32_e32 v2, v2
	v_ashrrev_i32_e32 v2, 31, v2
	v_and_b32_e32 v35, v35, v36
	;; [unrolled: 8-line block ×5, first 2 shown]
	v_xor_b32_e32 v36, vcc_hi, v2
	v_xor_b32_e32 v2, vcc_lo, v2
	v_and_b32_e32 v4, v4, v2
	v_lshlrev_b32_e32 v2, 24, v3
	v_cmp_gt_i64_e32 vcc, 0, v[1:2]
	v_not_b32_e32 v2, v2
	v_ashrrev_i32_e32 v2, 31, v2
	v_xor_b32_e32 v3, vcc_hi, v2
	v_xor_b32_e32 v2, vcc_lo, v2
	; wave barrier
	ds_read_b32 v33, v34 offset:16
	v_and_b32_e32 v35, v35, v36
	v_and_b32_e32 v2, v4, v2
	;; [unrolled: 1-line block ×3, first 2 shown]
	v_mbcnt_lo_u32_b32 v4, v2, 0
	v_mbcnt_hi_u32_b32 v35, v3, v4
	v_cmp_ne_u64_e32 vcc, 0, v[2:3]
	v_cmp_eq_u32_e64 s[0:1], 0, v35
	s_and_b64 s[2:3], vcc, s[0:1]
	; wave barrier
	s_and_saveexec_b64 s[0:1], s[2:3]
	s_cbranch_execz .LBB24_163
; %bb.162:
	v_bcnt_u32_b32 v2, v2, 0
	v_bcnt_u32_b32 v2, v3, v2
	s_waitcnt lgkmcnt(0)
	v_add_u32_e32 v2, v33, v2
	ds_write_b32 v34, v2 offset:16
.LBB24_163:
	s_or_b64 exec, exec, s[0:1]
	v_lshrrev_b32_e32 v2, s68, v14
	v_and_b32_e32 v3, s9, v2
	v_mul_lo_u32 v2, v3, 20
	v_and_b32_e32 v4, 1, v3
	; wave barrier
	v_add_u32_e32 v37, v28, v2
	v_add_co_u32_e32 v2, vcc, -1, v4
	v_addc_co_u32_e64 v38, s[0:1], 0, -1, vcc
	v_cmp_ne_u32_e32 vcc, 0, v4
	v_xor_b32_e32 v2, vcc_lo, v2
	v_xor_b32_e32 v4, vcc_hi, v38
	v_and_b32_e32 v38, exec_lo, v2
	v_lshlrev_b32_e32 v2, 30, v3
	v_cmp_gt_i64_e32 vcc, 0, v[1:2]
	v_not_b32_e32 v2, v2
	v_ashrrev_i32_e32 v2, 31, v2
	v_xor_b32_e32 v39, vcc_hi, v2
	v_xor_b32_e32 v2, vcc_lo, v2
	v_and_b32_e32 v38, v38, v2
	v_lshlrev_b32_e32 v2, 29, v3
	v_cmp_gt_i64_e32 vcc, 0, v[1:2]
	v_not_b32_e32 v2, v2
	v_and_b32_e32 v4, exec_hi, v4
	v_ashrrev_i32_e32 v2, 31, v2
	v_and_b32_e32 v4, v4, v39
	v_xor_b32_e32 v39, vcc_hi, v2
	v_xor_b32_e32 v2, vcc_lo, v2
	v_and_b32_e32 v38, v38, v2
	v_lshlrev_b32_e32 v2, 28, v3
	v_cmp_gt_i64_e32 vcc, 0, v[1:2]
	v_not_b32_e32 v2, v2
	v_ashrrev_i32_e32 v2, 31, v2
	v_and_b32_e32 v4, v4, v39
	v_xor_b32_e32 v39, vcc_hi, v2
	v_xor_b32_e32 v2, vcc_lo, v2
	v_and_b32_e32 v38, v38, v2
	v_lshlrev_b32_e32 v2, 27, v3
	v_cmp_gt_i64_e32 vcc, 0, v[1:2]
	v_not_b32_e32 v2, v2
	;; [unrolled: 8-line block ×5, first 2 shown]
	v_ashrrev_i32_e32 v1, 31, v1
	v_xor_b32_e32 v2, vcc_hi, v1
	v_xor_b32_e32 v1, vcc_lo, v1
	ds_read_b32 v36, v37 offset:16
	v_and_b32_e32 v4, v4, v39
	v_and_b32_e32 v1, v38, v1
	;; [unrolled: 1-line block ×3, first 2 shown]
	v_mbcnt_lo_u32_b32 v3, v1, 0
	v_mbcnt_hi_u32_b32 v38, v2, v3
	v_cmp_ne_u64_e32 vcc, 0, v[1:2]
	v_cmp_eq_u32_e64 s[0:1], 0, v38
	s_and_b64 s[2:3], vcc, s[0:1]
	; wave barrier
	s_and_saveexec_b64 s[0:1], s[2:3]
	s_cbranch_execz .LBB24_165
; %bb.164:
	v_bcnt_u32_b32 v1, v1, 0
	v_bcnt_u32_b32 v1, v2, v1
	s_waitcnt lgkmcnt(0)
	v_add_u32_e32 v1, v36, v1
	ds_write_b32 v37, v1 offset:16
.LBB24_165:
	s_or_b64 exec, exec, s[0:1]
	v_lshrrev_b32_e32 v1, s68, v13
	v_and_b32_e32 v3, s9, v1
	v_mul_lo_u32 v1, v3, 20
	v_and_b32_e32 v2, 1, v3
	v_add_co_u32_e32 v4, vcc, -1, v2
	v_addc_co_u32_e64 v41, s[0:1], 0, -1, vcc
	v_cmp_ne_u32_e32 vcc, 0, v2
	v_xor_b32_e32 v2, vcc_hi, v41
	v_add_u32_e32 v40, v28, v1
	v_mov_b32_e32 v1, 0
	v_and_b32_e32 v41, exec_hi, v2
	v_lshlrev_b32_e32 v2, 30, v3
	v_xor_b32_e32 v4, vcc_lo, v4
	v_cmp_gt_i64_e32 vcc, 0, v[1:2]
	v_not_b32_e32 v2, v2
	v_ashrrev_i32_e32 v2, 31, v2
	v_and_b32_e32 v4, exec_lo, v4
	v_xor_b32_e32 v42, vcc_hi, v2
	v_xor_b32_e32 v2, vcc_lo, v2
	v_and_b32_e32 v4, v4, v2
	v_lshlrev_b32_e32 v2, 29, v3
	v_cmp_gt_i64_e32 vcc, 0, v[1:2]
	v_not_b32_e32 v2, v2
	v_ashrrev_i32_e32 v2, 31, v2
	v_and_b32_e32 v41, v41, v42
	v_xor_b32_e32 v42, vcc_hi, v2
	v_xor_b32_e32 v2, vcc_lo, v2
	v_and_b32_e32 v4, v4, v2
	v_lshlrev_b32_e32 v2, 28, v3
	v_cmp_gt_i64_e32 vcc, 0, v[1:2]
	v_not_b32_e32 v2, v2
	v_ashrrev_i32_e32 v2, 31, v2
	v_and_b32_e32 v41, v41, v42
	v_xor_b32_e32 v42, vcc_hi, v2
	v_xor_b32_e32 v2, vcc_lo, v2
	v_and_b32_e32 v4, v4, v2
	v_lshlrev_b32_e32 v2, 27, v3
	v_cmp_gt_i64_e32 vcc, 0, v[1:2]
	v_not_b32_e32 v2, v2
	v_ashrrev_i32_e32 v2, 31, v2
	v_and_b32_e32 v41, v41, v42
	v_xor_b32_e32 v42, vcc_hi, v2
	v_xor_b32_e32 v2, vcc_lo, v2
	v_and_b32_e32 v4, v4, v2
	v_lshlrev_b32_e32 v2, 26, v3
	v_cmp_gt_i64_e32 vcc, 0, v[1:2]
	v_not_b32_e32 v2, v2
	v_ashrrev_i32_e32 v2, 31, v2
	v_and_b32_e32 v41, v41, v42
	v_xor_b32_e32 v42, vcc_hi, v2
	v_xor_b32_e32 v2, vcc_lo, v2
	v_and_b32_e32 v4, v4, v2
	v_lshlrev_b32_e32 v2, 25, v3
	v_cmp_gt_i64_e32 vcc, 0, v[1:2]
	v_not_b32_e32 v2, v2
	v_ashrrev_i32_e32 v2, 31, v2
	v_and_b32_e32 v41, v41, v42
	v_xor_b32_e32 v42, vcc_hi, v2
	v_xor_b32_e32 v2, vcc_lo, v2
	v_and_b32_e32 v4, v4, v2
	v_lshlrev_b32_e32 v2, 24, v3
	v_cmp_gt_i64_e32 vcc, 0, v[1:2]
	v_not_b32_e32 v2, v2
	v_ashrrev_i32_e32 v2, 31, v2
	v_xor_b32_e32 v3, vcc_hi, v2
	v_xor_b32_e32 v2, vcc_lo, v2
	; wave barrier
	ds_read_b32 v39, v40 offset:16
	v_and_b32_e32 v41, v41, v42
	v_and_b32_e32 v2, v4, v2
	;; [unrolled: 1-line block ×3, first 2 shown]
	v_mbcnt_lo_u32_b32 v4, v2, 0
	v_mbcnt_hi_u32_b32 v41, v3, v4
	v_cmp_ne_u64_e32 vcc, 0, v[2:3]
	v_cmp_eq_u32_e64 s[0:1], 0, v41
	s_and_b64 s[2:3], vcc, s[0:1]
	; wave barrier
	s_and_saveexec_b64 s[0:1], s[2:3]
	s_cbranch_execz .LBB24_167
; %bb.166:
	v_bcnt_u32_b32 v2, v2, 0
	v_bcnt_u32_b32 v2, v3, v2
	s_waitcnt lgkmcnt(0)
	v_add_u32_e32 v2, v39, v2
	ds_write_b32 v40, v2 offset:16
.LBB24_167:
	s_or_b64 exec, exec, s[0:1]
	v_lshrrev_b32_e32 v2, s68, v12
	v_and_b32_e32 v3, s9, v2
	v_mul_lo_u32 v2, v3, 20
	v_and_b32_e32 v4, 1, v3
	; wave barrier
	v_add_u32_e32 v43, v28, v2
	v_add_co_u32_e32 v2, vcc, -1, v4
	v_addc_co_u32_e64 v44, s[0:1], 0, -1, vcc
	v_cmp_ne_u32_e32 vcc, 0, v4
	v_xor_b32_e32 v2, vcc_lo, v2
	v_xor_b32_e32 v4, vcc_hi, v44
	v_and_b32_e32 v44, exec_lo, v2
	v_lshlrev_b32_e32 v2, 30, v3
	v_cmp_gt_i64_e32 vcc, 0, v[1:2]
	v_not_b32_e32 v2, v2
	v_ashrrev_i32_e32 v2, 31, v2
	v_xor_b32_e32 v45, vcc_hi, v2
	v_xor_b32_e32 v2, vcc_lo, v2
	v_and_b32_e32 v44, v44, v2
	v_lshlrev_b32_e32 v2, 29, v3
	v_cmp_gt_i64_e32 vcc, 0, v[1:2]
	v_not_b32_e32 v2, v2
	v_and_b32_e32 v4, exec_hi, v4
	v_ashrrev_i32_e32 v2, 31, v2
	v_and_b32_e32 v4, v4, v45
	v_xor_b32_e32 v45, vcc_hi, v2
	v_xor_b32_e32 v2, vcc_lo, v2
	v_and_b32_e32 v44, v44, v2
	v_lshlrev_b32_e32 v2, 28, v3
	v_cmp_gt_i64_e32 vcc, 0, v[1:2]
	v_not_b32_e32 v2, v2
	v_ashrrev_i32_e32 v2, 31, v2
	v_and_b32_e32 v4, v4, v45
	v_xor_b32_e32 v45, vcc_hi, v2
	v_xor_b32_e32 v2, vcc_lo, v2
	v_and_b32_e32 v44, v44, v2
	v_lshlrev_b32_e32 v2, 27, v3
	v_cmp_gt_i64_e32 vcc, 0, v[1:2]
	v_not_b32_e32 v2, v2
	;; [unrolled: 8-line block ×5, first 2 shown]
	v_ashrrev_i32_e32 v1, 31, v1
	v_xor_b32_e32 v2, vcc_hi, v1
	v_xor_b32_e32 v1, vcc_lo, v1
	ds_read_b32 v42, v43 offset:16
	v_and_b32_e32 v4, v4, v45
	v_and_b32_e32 v1, v44, v1
	;; [unrolled: 1-line block ×3, first 2 shown]
	v_mbcnt_lo_u32_b32 v3, v1, 0
	v_mbcnt_hi_u32_b32 v44, v2, v3
	v_cmp_ne_u64_e32 vcc, 0, v[1:2]
	v_cmp_eq_u32_e64 s[0:1], 0, v44
	s_and_b64 s[2:3], vcc, s[0:1]
	; wave barrier
	s_and_saveexec_b64 s[0:1], s[2:3]
	s_cbranch_execz .LBB24_169
; %bb.168:
	v_bcnt_u32_b32 v1, v1, 0
	v_bcnt_u32_b32 v1, v2, v1
	s_waitcnt lgkmcnt(0)
	v_add_u32_e32 v1, v42, v1
	ds_write_b32 v43, v1 offset:16
.LBB24_169:
	s_or_b64 exec, exec, s[0:1]
	v_lshrrev_b32_e32 v1, s68, v11
	v_and_b32_e32 v3, s9, v1
	v_mul_lo_u32 v1, v3, 20
	v_and_b32_e32 v2, 1, v3
	v_add_co_u32_e32 v4, vcc, -1, v2
	v_addc_co_u32_e64 v47, s[0:1], 0, -1, vcc
	v_cmp_ne_u32_e32 vcc, 0, v2
	v_xor_b32_e32 v2, vcc_hi, v47
	v_add_u32_e32 v46, v28, v1
	v_mov_b32_e32 v1, 0
	v_and_b32_e32 v47, exec_hi, v2
	v_lshlrev_b32_e32 v2, 30, v3
	v_xor_b32_e32 v4, vcc_lo, v4
	v_cmp_gt_i64_e32 vcc, 0, v[1:2]
	v_not_b32_e32 v2, v2
	v_ashrrev_i32_e32 v2, 31, v2
	v_and_b32_e32 v4, exec_lo, v4
	v_xor_b32_e32 v48, vcc_hi, v2
	v_xor_b32_e32 v2, vcc_lo, v2
	v_and_b32_e32 v4, v4, v2
	v_lshlrev_b32_e32 v2, 29, v3
	v_cmp_gt_i64_e32 vcc, 0, v[1:2]
	v_not_b32_e32 v2, v2
	v_ashrrev_i32_e32 v2, 31, v2
	v_and_b32_e32 v47, v47, v48
	v_xor_b32_e32 v48, vcc_hi, v2
	v_xor_b32_e32 v2, vcc_lo, v2
	v_and_b32_e32 v4, v4, v2
	v_lshlrev_b32_e32 v2, 28, v3
	v_cmp_gt_i64_e32 vcc, 0, v[1:2]
	v_not_b32_e32 v2, v2
	v_ashrrev_i32_e32 v2, 31, v2
	v_and_b32_e32 v47, v47, v48
	v_xor_b32_e32 v48, vcc_hi, v2
	v_xor_b32_e32 v2, vcc_lo, v2
	v_and_b32_e32 v4, v4, v2
	v_lshlrev_b32_e32 v2, 27, v3
	v_cmp_gt_i64_e32 vcc, 0, v[1:2]
	v_not_b32_e32 v2, v2
	v_ashrrev_i32_e32 v2, 31, v2
	v_and_b32_e32 v47, v47, v48
	v_xor_b32_e32 v48, vcc_hi, v2
	v_xor_b32_e32 v2, vcc_lo, v2
	v_and_b32_e32 v4, v4, v2
	v_lshlrev_b32_e32 v2, 26, v3
	v_cmp_gt_i64_e32 vcc, 0, v[1:2]
	v_not_b32_e32 v2, v2
	v_ashrrev_i32_e32 v2, 31, v2
	v_and_b32_e32 v47, v47, v48
	v_xor_b32_e32 v48, vcc_hi, v2
	v_xor_b32_e32 v2, vcc_lo, v2
	v_and_b32_e32 v4, v4, v2
	v_lshlrev_b32_e32 v2, 25, v3
	v_cmp_gt_i64_e32 vcc, 0, v[1:2]
	v_not_b32_e32 v2, v2
	v_ashrrev_i32_e32 v2, 31, v2
	v_and_b32_e32 v47, v47, v48
	v_xor_b32_e32 v48, vcc_hi, v2
	v_xor_b32_e32 v2, vcc_lo, v2
	v_and_b32_e32 v4, v4, v2
	v_lshlrev_b32_e32 v2, 24, v3
	v_cmp_gt_i64_e32 vcc, 0, v[1:2]
	v_not_b32_e32 v2, v2
	v_ashrrev_i32_e32 v2, 31, v2
	v_xor_b32_e32 v3, vcc_hi, v2
	v_xor_b32_e32 v2, vcc_lo, v2
	; wave barrier
	ds_read_b32 v45, v46 offset:16
	v_and_b32_e32 v47, v47, v48
	v_and_b32_e32 v2, v4, v2
	v_and_b32_e32 v3, v47, v3
	v_mbcnt_lo_u32_b32 v4, v2, 0
	v_mbcnt_hi_u32_b32 v47, v3, v4
	v_cmp_ne_u64_e32 vcc, 0, v[2:3]
	v_cmp_eq_u32_e64 s[0:1], 0, v47
	s_and_b64 s[2:3], vcc, s[0:1]
	; wave barrier
	s_and_saveexec_b64 s[0:1], s[2:3]
	s_cbranch_execz .LBB24_171
; %bb.170:
	v_bcnt_u32_b32 v2, v2, 0
	v_bcnt_u32_b32 v2, v3, v2
	s_waitcnt lgkmcnt(0)
	v_add_u32_e32 v2, v45, v2
	ds_write_b32 v46, v2 offset:16
.LBB24_171:
	s_or_b64 exec, exec, s[0:1]
	v_lshrrev_b32_e32 v2, s68, v10
	v_and_b32_e32 v3, s9, v2
	v_mul_lo_u32 v2, v3, 20
	v_and_b32_e32 v4, 1, v3
	; wave barrier
	v_add_u32_e32 v49, v28, v2
	v_add_co_u32_e32 v2, vcc, -1, v4
	v_addc_co_u32_e64 v50, s[0:1], 0, -1, vcc
	v_cmp_ne_u32_e32 vcc, 0, v4
	v_xor_b32_e32 v2, vcc_lo, v2
	v_xor_b32_e32 v4, vcc_hi, v50
	v_and_b32_e32 v50, exec_lo, v2
	v_lshlrev_b32_e32 v2, 30, v3
	v_cmp_gt_i64_e32 vcc, 0, v[1:2]
	v_not_b32_e32 v2, v2
	v_ashrrev_i32_e32 v2, 31, v2
	v_xor_b32_e32 v51, vcc_hi, v2
	v_xor_b32_e32 v2, vcc_lo, v2
	v_and_b32_e32 v50, v50, v2
	v_lshlrev_b32_e32 v2, 29, v3
	v_cmp_gt_i64_e32 vcc, 0, v[1:2]
	v_not_b32_e32 v2, v2
	v_and_b32_e32 v4, exec_hi, v4
	v_ashrrev_i32_e32 v2, 31, v2
	v_and_b32_e32 v4, v4, v51
	v_xor_b32_e32 v51, vcc_hi, v2
	v_xor_b32_e32 v2, vcc_lo, v2
	v_and_b32_e32 v50, v50, v2
	v_lshlrev_b32_e32 v2, 28, v3
	v_cmp_gt_i64_e32 vcc, 0, v[1:2]
	v_not_b32_e32 v2, v2
	v_ashrrev_i32_e32 v2, 31, v2
	v_and_b32_e32 v4, v4, v51
	v_xor_b32_e32 v51, vcc_hi, v2
	v_xor_b32_e32 v2, vcc_lo, v2
	v_and_b32_e32 v50, v50, v2
	v_lshlrev_b32_e32 v2, 27, v3
	v_cmp_gt_i64_e32 vcc, 0, v[1:2]
	v_not_b32_e32 v2, v2
	;; [unrolled: 8-line block ×5, first 2 shown]
	v_ashrrev_i32_e32 v1, 31, v1
	v_xor_b32_e32 v2, vcc_hi, v1
	v_xor_b32_e32 v1, vcc_lo, v1
	ds_read_b32 v48, v49 offset:16
	v_and_b32_e32 v4, v4, v51
	v_and_b32_e32 v1, v50, v1
	;; [unrolled: 1-line block ×3, first 2 shown]
	v_mbcnt_lo_u32_b32 v3, v1, 0
	v_mbcnt_hi_u32_b32 v51, v2, v3
	v_cmp_ne_u64_e32 vcc, 0, v[1:2]
	v_cmp_eq_u32_e64 s[0:1], 0, v51
	s_and_b64 s[2:3], vcc, s[0:1]
	; wave barrier
	s_and_saveexec_b64 s[0:1], s[2:3]
	s_cbranch_execz .LBB24_173
; %bb.172:
	v_bcnt_u32_b32 v1, v1, 0
	v_bcnt_u32_b32 v1, v2, v1
	s_waitcnt lgkmcnt(0)
	v_add_u32_e32 v1, v48, v1
	ds_write_b32 v49, v1 offset:16
.LBB24_173:
	s_or_b64 exec, exec, s[0:1]
	v_lshrrev_b32_e32 v1, s68, v9
	v_and_b32_e32 v3, s9, v1
	v_mul_lo_u32 v1, v3, 20
	v_and_b32_e32 v2, 1, v3
	v_add_co_u32_e32 v4, vcc, -1, v2
	v_addc_co_u32_e64 v50, s[0:1], 0, -1, vcc
	v_cmp_ne_u32_e32 vcc, 0, v2
	v_xor_b32_e32 v2, vcc_hi, v50
	v_add_u32_e32 v53, v28, v1
	v_mov_b32_e32 v1, 0
	v_and_b32_e32 v50, exec_hi, v2
	v_lshlrev_b32_e32 v2, 30, v3
	v_xor_b32_e32 v4, vcc_lo, v4
	v_cmp_gt_i64_e32 vcc, 0, v[1:2]
	v_not_b32_e32 v2, v2
	v_ashrrev_i32_e32 v2, 31, v2
	v_and_b32_e32 v4, exec_lo, v4
	v_xor_b32_e32 v54, vcc_hi, v2
	v_xor_b32_e32 v2, vcc_lo, v2
	v_and_b32_e32 v4, v4, v2
	v_lshlrev_b32_e32 v2, 29, v3
	v_cmp_gt_i64_e32 vcc, 0, v[1:2]
	v_not_b32_e32 v2, v2
	v_ashrrev_i32_e32 v2, 31, v2
	v_and_b32_e32 v50, v50, v54
	v_xor_b32_e32 v54, vcc_hi, v2
	v_xor_b32_e32 v2, vcc_lo, v2
	v_and_b32_e32 v4, v4, v2
	v_lshlrev_b32_e32 v2, 28, v3
	v_cmp_gt_i64_e32 vcc, 0, v[1:2]
	v_not_b32_e32 v2, v2
	v_ashrrev_i32_e32 v2, 31, v2
	v_and_b32_e32 v50, v50, v54
	;; [unrolled: 8-line block ×5, first 2 shown]
	v_xor_b32_e32 v54, vcc_hi, v2
	v_xor_b32_e32 v2, vcc_lo, v2
	v_and_b32_e32 v4, v4, v2
	v_lshlrev_b32_e32 v2, 24, v3
	v_cmp_gt_i64_e32 vcc, 0, v[1:2]
	v_not_b32_e32 v2, v2
	v_ashrrev_i32_e32 v2, 31, v2
	v_xor_b32_e32 v3, vcc_hi, v2
	v_xor_b32_e32 v2, vcc_lo, v2
	; wave barrier
	ds_read_b32 v52, v53 offset:16
	v_and_b32_e32 v50, v50, v54
	v_and_b32_e32 v2, v4, v2
	;; [unrolled: 1-line block ×3, first 2 shown]
	v_mbcnt_lo_u32_b32 v4, v2, 0
	v_mbcnt_hi_u32_b32 v54, v3, v4
	v_cmp_ne_u64_e32 vcc, 0, v[2:3]
	v_cmp_eq_u32_e64 s[0:1], 0, v54
	s_and_b64 s[2:3], vcc, s[0:1]
	; wave barrier
	s_and_saveexec_b64 s[0:1], s[2:3]
	s_cbranch_execz .LBB24_175
; %bb.174:
	v_bcnt_u32_b32 v2, v2, 0
	v_bcnt_u32_b32 v2, v3, v2
	s_waitcnt lgkmcnt(0)
	v_add_u32_e32 v2, v52, v2
	ds_write_b32 v53, v2 offset:16
.LBB24_175:
	s_or_b64 exec, exec, s[0:1]
	v_lshrrev_b32_e32 v2, s68, v6
	v_and_b32_e32 v3, s9, v2
	v_mul_lo_u32 v2, v3, 20
	v_and_b32_e32 v4, 1, v3
	; wave barrier
	v_add_u32_e32 v28, v28, v2
	v_add_co_u32_e32 v2, vcc, -1, v4
	v_addc_co_u32_e64 v50, s[0:1], 0, -1, vcc
	v_cmp_ne_u32_e32 vcc, 0, v4
	v_xor_b32_e32 v2, vcc_lo, v2
	v_xor_b32_e32 v4, vcc_hi, v50
	v_and_b32_e32 v50, exec_lo, v2
	v_lshlrev_b32_e32 v2, 30, v3
	v_cmp_gt_i64_e32 vcc, 0, v[1:2]
	v_not_b32_e32 v2, v2
	v_ashrrev_i32_e32 v2, 31, v2
	v_xor_b32_e32 v56, vcc_hi, v2
	v_xor_b32_e32 v2, vcc_lo, v2
	v_and_b32_e32 v50, v50, v2
	v_lshlrev_b32_e32 v2, 29, v3
	v_cmp_gt_i64_e32 vcc, 0, v[1:2]
	v_not_b32_e32 v2, v2
	v_and_b32_e32 v4, exec_hi, v4
	v_ashrrev_i32_e32 v2, 31, v2
	v_and_b32_e32 v4, v4, v56
	v_xor_b32_e32 v56, vcc_hi, v2
	v_xor_b32_e32 v2, vcc_lo, v2
	v_and_b32_e32 v50, v50, v2
	v_lshlrev_b32_e32 v2, 28, v3
	v_cmp_gt_i64_e32 vcc, 0, v[1:2]
	v_not_b32_e32 v2, v2
	v_ashrrev_i32_e32 v2, 31, v2
	v_and_b32_e32 v4, v4, v56
	v_xor_b32_e32 v56, vcc_hi, v2
	v_xor_b32_e32 v2, vcc_lo, v2
	v_and_b32_e32 v50, v50, v2
	v_lshlrev_b32_e32 v2, 27, v3
	v_cmp_gt_i64_e32 vcc, 0, v[1:2]
	v_not_b32_e32 v2, v2
	;; [unrolled: 8-line block ×5, first 2 shown]
	v_ashrrev_i32_e32 v1, 31, v1
	v_xor_b32_e32 v2, vcc_hi, v1
	v_xor_b32_e32 v1, vcc_lo, v1
	ds_read_b32 v55, v28 offset:16
	v_and_b32_e32 v4, v4, v56
	v_and_b32_e32 v1, v50, v1
	;; [unrolled: 1-line block ×3, first 2 shown]
	v_mbcnt_lo_u32_b32 v3, v1, 0
	v_mbcnt_hi_u32_b32 v56, v2, v3
	v_cmp_ne_u64_e32 vcc, 0, v[1:2]
	v_cmp_eq_u32_e64 s[0:1], 0, v56
	s_and_b64 s[2:3], vcc, s[0:1]
	; wave barrier
	s_and_saveexec_b64 s[0:1], s[2:3]
	s_cbranch_execz .LBB24_177
; %bb.176:
	v_bcnt_u32_b32 v1, v1, 0
	v_bcnt_u32_b32 v1, v2, v1
	s_waitcnt lgkmcnt(0)
	v_add_u32_e32 v1, v55, v1
	ds_write_b32 v28, v1 offset:16
.LBB24_177:
	s_or_b64 exec, exec, s[0:1]
	; wave barrier
	s_waitcnt lgkmcnt(0)
	s_barrier
	ds_read2_b32 v[3:4], v19 offset0:4 offset1:5
	ds_read2_b32 v[1:2], v19 offset0:6 offset1:7
	ds_read_b32 v50, v19 offset:32
	v_min_u32_e32 v20, 0xc0, v20
	v_or_b32_e32 v20, 63, v20
	s_waitcnt lgkmcnt(1)
	v_add3_u32 v57, v4, v3, v1
	s_waitcnt lgkmcnt(0)
	v_add3_u32 v50, v57, v2, v50
	v_and_b32_e32 v57, 15, v8
	v_cmp_ne_u32_e32 vcc, 0, v57
	v_mov_b32_dpp v58, v50 row_shr:1 row_mask:0xf bank_mask:0xf
	v_cndmask_b32_e32 v58, 0, v58, vcc
	v_add_u32_e32 v50, v58, v50
	v_cmp_lt_u32_e32 vcc, 1, v57
	s_nop 0
	v_mov_b32_dpp v58, v50 row_shr:2 row_mask:0xf bank_mask:0xf
	v_cndmask_b32_e32 v58, 0, v58, vcc
	v_add_u32_e32 v50, v50, v58
	v_cmp_lt_u32_e32 vcc, 3, v57
	s_nop 0
	;; [unrolled: 5-line block ×3, first 2 shown]
	v_mov_b32_dpp v58, v50 row_shr:8 row_mask:0xf bank_mask:0xf
	v_cndmask_b32_e32 v57, 0, v58, vcc
	v_add_u32_e32 v50, v50, v57
	v_bfe_i32 v58, v8, 4, 1
	v_cmp_lt_u32_e32 vcc, 31, v8
	v_mov_b32_dpp v57, v50 row_bcast:15 row_mask:0xf bank_mask:0xf
	v_and_b32_e32 v57, v58, v57
	v_add_u32_e32 v50, v50, v57
	v_lshrrev_b32_e32 v58, 6, v0
	s_nop 0
	v_mov_b32_dpp v57, v50 row_bcast:31 row_mask:0xf bank_mask:0xf
	v_cndmask_b32_e32 v57, 0, v57, vcc
	v_add_u32_e32 v57, v50, v57
	v_cmp_eq_u32_e32 vcc, v0, v20
	s_and_saveexec_b64 s[0:1], vcc
; %bb.178:
	v_lshlrev_b32_e32 v20, 2, v58
	ds_write_b32 v20, v57
; %bb.179:
	s_or_b64 exec, exec, s[0:1]
	v_cmp_gt_u32_e32 vcc, 4, v0
	v_lshlrev_b32_e32 v50, 2, v0
	s_waitcnt lgkmcnt(0)
	s_barrier
	s_and_saveexec_b64 s[0:1], vcc
	s_cbranch_execz .LBB24_181
; %bb.180:
	ds_read_b32 v20, v50
	v_and_b32_e32 v59, 3, v8
	v_cmp_ne_u32_e32 vcc, 0, v59
	s_waitcnt lgkmcnt(0)
	v_mov_b32_dpp v60, v20 row_shr:1 row_mask:0xf bank_mask:0xf
	v_cndmask_b32_e32 v60, 0, v60, vcc
	v_add_u32_e32 v20, v60, v20
	v_cmp_lt_u32_e32 vcc, 1, v59
	s_nop 0
	v_mov_b32_dpp v60, v20 row_shr:2 row_mask:0xf bank_mask:0xf
	v_cndmask_b32_e32 v59, 0, v60, vcc
	v_add_u32_e32 v20, v20, v59
	ds_write_b32 v50, v20
.LBB24_181:
	s_or_b64 exec, exec, s[0:1]
	v_cmp_lt_u32_e32 vcc, 63, v0
	v_mov_b32_e32 v20, 0
	s_waitcnt lgkmcnt(0)
	s_barrier
	s_and_saveexec_b64 s[0:1], vcc
; %bb.182:
	v_lshl_add_u32 v20, v58, 2, -4
	ds_read_b32 v20, v20
; %bb.183:
	s_or_b64 exec, exec, s[0:1]
	v_add_u32_e32 v58, -1, v8
	v_and_b32_e32 v59, 64, v8
	v_cmp_lt_i32_e32 vcc, v58, v59
	v_cndmask_b32_e32 v58, v58, v8, vcc
	s_waitcnt lgkmcnt(0)
	v_add_u32_e32 v57, v20, v57
	v_lshlrev_b32_e32 v58, 2, v58
	ds_bpermute_b32 v57, v58, v57
	v_cmp_eq_u32_e32 vcc, 0, v8
	s_movk_i32 s0, 0x100
	s_waitcnt lgkmcnt(0)
	v_cndmask_b32_e32 v20, v57, v20, vcc
	v_cmp_ne_u32_e32 vcc, 0, v0
	v_cndmask_b32_e32 v20, 0, v20, vcc
	v_add_u32_e32 v3, v20, v3
	v_add_u32_e32 v4, v3, v4
	;; [unrolled: 1-line block ×4, first 2 shown]
	ds_write2_b32 v19, v20, v3 offset0:4 offset1:5
	ds_write2_b32 v19, v4, v1 offset0:6 offset1:7
	ds_write_b32 v19, v2 offset:32
	s_waitcnt lgkmcnt(0)
	s_barrier
	ds_read_b32 v2, v23 offset:16
	ds_read_b32 v3, v46 offset:16
	;; [unrolled: 1-line block ×13, first 2 shown]
	v_add_u32_e32 v28, 1, v0
	v_cmp_ne_u32_e32 vcc, s0, v28
	v_mov_b32_e32 v1, 0xc00
	s_and_saveexec_b64 s[0:1], vcc
; %bb.184:
	v_mul_u32_u24_e32 v1, 20, v28
	ds_read_b32 v1, v1 offset:16
; %bb.185:
	s_or_b64 exec, exec, s[0:1]
	s_waitcnt lgkmcnt(12)
	v_add_u32_e32 v34, v2, v21
	s_waitcnt lgkmcnt(7)
	v_add3_u32 v31, v25, v22, v23
	v_lshlrev_b32_e32 v2, 2, v34
	s_waitcnt lgkmcnt(6)
	v_add3_u32 v29, v29, v26, v24
	s_waitcnt lgkmcnt(0)
	s_barrier
	ds_write_b32 v2, v5 offset:2048
	v_lshlrev_b32_e32 v2, 2, v31
	v_add3_u32 v28, v32, v30, v27
	ds_write_b32 v2, v18 offset:2048
	v_lshlrev_b32_e32 v2, 2, v29
	v_add3_u32 v27, v35, v33, v49
	;; [unrolled: 3-line block ×9, first 2 shown]
	ds_write_b32 v2, v10 offset:2048
	v_lshlrev_b32_e32 v2, 2, v21
	ds_write_b32 v2, v9 offset:2048
	v_lshlrev_b32_e32 v2, 2, v20
	ds_write_b32 v2, v6 offset:2048
	v_sub_u32_e32 v9, v1, v19
	v_lshl_or_b32 v1, s6, 8, v0
	v_mov_b32_e32 v2, 0
	v_lshlrev_b64 v[3:4], 2, v[1:2]
	v_mov_b32_e32 v10, s73
	v_add_co_u32_e32 v3, vcc, s72, v3
	v_addc_co_u32_e32 v4, vcc, v10, v4, vcc
	v_or_b32_e32 v1, 2.0, v9
	s_mov_b64 s[0:1], 0
	s_brev_b32 s10, -4
	v_mov_b32_e32 v11, 0
	s_waitcnt lgkmcnt(0)
	s_barrier
	global_store_dword v[3:4], v1, off
                                        ; implicit-def: $sgpr2_sgpr3
	s_branch .LBB24_188
.LBB24_186:                             ;   in Loop: Header=BB24_188 Depth=1
	s_or_b64 exec, exec, s[4:5]
.LBB24_187:                             ;   in Loop: Header=BB24_188 Depth=1
	s_or_b64 exec, exec, s[2:3]
	v_and_b32_e32 v5, 0x3fffffff, v1
	v_add_u32_e32 v11, v5, v11
	v_cmp_gt_i32_e64 s[2:3], -2.0, v1
	s_and_b64 s[4:5], exec, s[2:3]
	s_or_b64 s[0:1], s[4:5], s[0:1]
	s_andn2_b64 exec, exec, s[0:1]
	s_cbranch_execz .LBB24_193
.LBB24_188:                             ; =>This Loop Header: Depth=1
                                        ;     Child Loop BB24_191 Depth 2
	s_or_b64 s[2:3], s[2:3], exec
	s_cmp_eq_u32 s7, 0
	s_cbranch_scc1 .LBB24_192
; %bb.189:                              ;   in Loop: Header=BB24_188 Depth=1
	s_add_i32 s7, s7, -1
	v_lshl_or_b32 v1, s7, 8, v0
	v_lshlrev_b64 v[5:6], 2, v[1:2]
	v_add_co_u32_e32 v5, vcc, s72, v5
	v_addc_co_u32_e32 v6, vcc, v10, v6, vcc
	global_load_dword v1, v[5:6], off glc
	s_waitcnt vmcnt(0)
	v_cmp_gt_u32_e32 vcc, 2.0, v1
	s_and_saveexec_b64 s[2:3], vcc
	s_cbranch_execz .LBB24_187
; %bb.190:                              ;   in Loop: Header=BB24_188 Depth=1
	s_mov_b64 s[4:5], 0
.LBB24_191:                             ;   Parent Loop BB24_188 Depth=1
                                        ; =>  This Inner Loop Header: Depth=2
	global_load_dword v1, v[5:6], off glc
	s_waitcnt vmcnt(0)
	v_cmp_lt_u32_e32 vcc, s10, v1
	s_or_b64 s[4:5], vcc, s[4:5]
	s_andn2_b64 exec, exec, s[4:5]
	s_cbranch_execnz .LBB24_191
	s_branch .LBB24_186
.LBB24_192:                             ;   in Loop: Header=BB24_188 Depth=1
                                        ; implicit-def: $sgpr7
	s_and_b64 s[4:5], exec, s[2:3]
	s_or_b64 s[0:1], s[4:5], s[0:1]
	s_andn2_b64 exec, exec, s[0:1]
	s_cbranch_execnz .LBB24_188
.LBB24_193:
	s_or_b64 exec, exec, s[0:1]
	v_add_u32_e32 v2, v11, v9
	v_or_b32_e32 v2, 0x80000000, v2
	v_lshlrev_b32_e32 v1, 3, v0
	global_store_dword v[3:4], v2, off
	global_load_dwordx2 v[2:3], v1, s[64:65]
	v_sub_co_u32_e32 v4, vcc, v11, v19
	v_subb_co_u32_e64 v5, s[0:1], 0, 0, vcc
	v_sub_u32_e32 v46, v1, v50
	v_mov_b32_e32 v6, s59
	v_mov_b32_e32 v18, s59
	;; [unrolled: 1-line block ×4, first 2 shown]
	v_or_b32_e32 v55, 0x400, v0
	v_mov_b32_e32 v47, s59
	v_or_b32_e32 v64, 0x700, v0
	s_lshl_b64 s[0:1], s[54:55], 3
	s_add_u32 s0, s60, s0
	s_addc_u32 s1, s61, s1
	v_lshlrev_b32_e32 v7, 3, v7
	v_or_b32_e32 v65, 0x800, v0
	v_mov_b32_e32 v69, s59
	v_or_b32_e32 v70, 0xa00, v0
	s_add_i32 s8, s8, -1
	s_cmp_lg_u32 s6, s8
	s_waitcnt vmcnt(0)
	v_add_co_u32_e32 v2, vcc, v4, v2
	v_addc_co_u32_e32 v3, vcc, v5, v3, vcc
	ds_write_b64 v1, v[2:3]
	s_waitcnt lgkmcnt(0)
	s_barrier
	ds_read2st64_b32 v[2:3], v46 offset0:8 offset1:12
	ds_read2st64_b32 v[4:5], v46 offset0:16 offset1:20
	;; [unrolled: 1-line block ×4, first 2 shown]
	s_waitcnt lgkmcnt(2)
	v_lshrrev_b32_e32 v16, s68, v4
	v_lshrrev_b32_e32 v14, s68, v2
	;; [unrolled: 1-line block ×4, first 2 shown]
	s_waitcnt lgkmcnt(1)
	v_lshrrev_b32_e32 v32, s68, v10
	v_lshrrev_b32_e32 v33, s68, v11
	s_waitcnt lgkmcnt(0)
	v_lshrrev_b32_e32 v35, s68, v12
	v_lshrrev_b32_e32 v36, s68, v13
	v_and_b32_e32 v14, s9, v14
	v_and_b32_e32 v15, s9, v15
	;; [unrolled: 1-line block ×8, first 2 shown]
	v_lshlrev_b32_e32 v56, 3, v14
	v_lshlrev_b32_e32 v57, 3, v15
	;; [unrolled: 1-line block ×8, first 2 shown]
	ds_read_b64 v[14:15], v56
	ds_read_b64 v[16:17], v57
	;; [unrolled: 1-line block ×8, first 2 shown]
	s_waitcnt lgkmcnt(7)
	v_lshlrev_b64 v[14:15], 2, v[14:15]
	s_waitcnt lgkmcnt(6)
	v_lshlrev_b64 v[16:17], 2, v[16:17]
	v_add_co_u32_e32 v14, vcc, s58, v14
	v_addc_co_u32_e32 v6, vcc, v6, v15, vcc
	s_waitcnt lgkmcnt(5)
	v_lshlrev_b64 v[32:33], 2, v[32:33]
	v_add_co_u32_e32 v16, vcc, s58, v16
	v_addc_co_u32_e32 v17, vcc, v18, v17, vcc
	;; [unrolled: 4-line block ×3, first 2 shown]
	v_add_co_u32_e32 v35, vcc, s58, v35
	v_addc_co_u32_e32 v36, vcc, v45, v36, vcc
	v_add_co_u32_e32 v14, vcc, v14, v50
	v_addc_co_u32_e32 v15, vcc, 0, v6, vcc
	;; [unrolled: 2-line block ×4, first 2 shown]
	s_waitcnt lgkmcnt(3)
	v_lshlrev_b64 v[37:38], 2, v[37:38]
	v_add_co_u32_e32 v35, vcc, v35, v50
	v_addc_co_u32_e32 v36, vcc, 0, v36, vcc
	global_store_dword v[14:15], v2, off
	global_store_dword v[16:17], v3, off offset:1024
	global_store_dword v[32:33], v4, off offset:2048
	global_store_dword v[35:36], v5, off offset:3072
	v_add_co_u32_e32 v2, vcc, s58, v37
	v_addc_co_u32_e32 v3, vcc, v47, v38, vcc
	v_lshlrev_b32_e32 v4, 2, v55
	v_add_co_u32_e32 v2, vcc, v2, v4
	v_addc_co_u32_e32 v3, vcc, 0, v3, vcc
	global_store_dword v[2:3], v10, off
	s_waitcnt lgkmcnt(2)
	v_lshlrev_b64 v[2:3], 2, v[39:40]
	v_or_b32_e32 v18, 0x500, v0
	v_mov_b32_e32 v4, s59
	v_add_co_u32_e32 v2, vcc, s58, v2
	v_addc_co_u32_e32 v3, vcc, v4, v3, vcc
	v_lshlrev_b32_e32 v4, 2, v18
	v_add_co_u32_e32 v2, vcc, v2, v4
	v_addc_co_u32_e32 v3, vcc, 0, v3, vcc
	global_store_dword v[2:3], v11, off
	s_waitcnt lgkmcnt(1)
	v_lshlrev_b64 v[2:3], 2, v[41:42]
	v_or_b32_e32 v30, 0x600, v0
	v_mov_b32_e32 v4, s59
	v_add_co_u32_e32 v2, vcc, s58, v2
	v_addc_co_u32_e32 v3, vcc, v4, v3, vcc
	v_lshlrev_b32_e32 v4, 2, v30
	v_add_co_u32_e32 v2, vcc, v2, v4
	v_addc_co_u32_e32 v3, vcc, 0, v3, vcc
	global_store_dword v[2:3], v12, off
	s_waitcnt lgkmcnt(0)
	v_lshlrev_b64 v[2:3], 2, v[43:44]
	v_mov_b32_e32 v4, s59
	v_add_co_u32_e32 v5, vcc, s58, v2
	v_addc_co_u32_e32 v6, vcc, v4, v3, vcc
	ds_read2st64_b32 v[2:3], v46 offset0:40 offset1:44
	v_lshlrev_b32_e32 v4, 2, v64
	v_add_co_u32_e32 v4, vcc, v5, v4
	v_addc_co_u32_e32 v5, vcc, 0, v6, vcc
	s_waitcnt lgkmcnt(0)
	v_lshrrev_b32_e32 v6, s68, v3
	global_store_dword v[4:5], v13, off
	v_lshrrev_b32_e32 v4, s68, v2
	v_and_b32_e32 v6, s9, v6
	v_and_b32_e32 v4, s9, v4
	v_lshlrev_b32_e32 v67, 3, v6
	v_lshlrev_b32_e32 v6, 3, v8
	;; [unrolled: 1-line block ×3, first 2 shown]
	ds_read2st64_b32 v[4:5], v46 offset0:48 offset1:52
	ds_read_b64 v[10:11], v66
	v_mov_b32_e32 v8, s1
	v_add_co_u32_e32 v6, vcc, s0, v6
	v_addc_co_u32_e32 v8, vcc, 0, v8, vcc
	v_add_co_u32_e32 v6, vcc, v6, v7
	v_addc_co_u32_e32 v7, vcc, 0, v8, vcc
	s_waitcnt lgkmcnt(1)
	v_lshrrev_b32_e32 v14, s68, v4
	global_load_dwordx2 v[12:13], v[6:7], off
	global_load_dwordx2 v[16:17], v[6:7], off offset:1024
	v_and_b32_e32 v8, s9, v14
	global_load_dwordx2 v[14:15], v[6:7], off offset:512
	s_movk_i32 s0, 0x1000
	global_load_dwordx2 v[32:33], v[6:7], off offset:1536
	global_load_dwordx2 v[35:36], v[6:7], off offset:2048
	;; [unrolled: 1-line block ×5, first 2 shown]
	v_add_co_u32_e32 v6, vcc, s0, v6
	v_addc_co_u32_e32 v7, vcc, 0, v7, vcc
	v_lshrrev_b32_e32 v45, s68, v5
	global_load_dwordx2 v[43:44], v[6:7], off
	v_and_b32_e32 v47, s9, v45
	global_load_dwordx2 v[45:46], v[6:7], off offset:512
	v_lshlrev_b32_e32 v68, 3, v47
	global_load_dwordx2 v[47:48], v[6:7], off offset:1024
	global_load_dwordx2 v[49:50], v[6:7], off offset:1536
	s_waitcnt lgkmcnt(0)
	v_lshlrev_b64 v[10:11], 2, v[10:11]
	v_lshlrev_b32_e32 v8, 3, v8
	ds_read_b64 v[6:7], v67
	ds_read_b64 v[51:52], v8
	;; [unrolled: 1-line block ×3, first 2 shown]
	v_add_co_u32_e32 v10, vcc, s58, v10
	v_addc_co_u32_e32 v11, vcc, v69, v11, vcc
	v_lshlrev_b32_e32 v69, 2, v65
	v_add_co_u32_e32 v10, vcc, v10, v69
	s_waitcnt lgkmcnt(2)
	v_lshlrev_b64 v[6:7], 2, v[6:7]
	v_addc_co_u32_e32 v11, vcc, 0, v11, vcc
	global_store_dword v[10:11], v2, off
	v_or_b32_e32 v69, 0x900, v0
	v_mov_b32_e32 v2, s59
	v_add_co_u32_e32 v6, vcc, s58, v6
	v_addc_co_u32_e32 v2, vcc, v2, v7, vcc
	v_lshlrev_b32_e32 v7, 2, v69
	v_add_co_u32_e32 v6, vcc, v6, v7
	v_addc_co_u32_e32 v7, vcc, 0, v2, vcc
	global_store_dword v[6:7], v3, off
	s_waitcnt lgkmcnt(1)
	v_lshlrev_b64 v[2:3], 2, v[51:52]
	v_mov_b32_e32 v6, s59
	v_add_co_u32_e32 v2, vcc, s58, v2
	v_addc_co_u32_e32 v3, vcc, v6, v3, vcc
	v_lshlrev_b32_e32 v6, 2, v70
	v_add_co_u32_e32 v2, vcc, v2, v6
	v_addc_co_u32_e32 v3, vcc, 0, v3, vcc
	global_store_dword v[2:3], v4, off
	s_waitcnt lgkmcnt(0)
	v_lshlrev_b64 v[2:3], 2, v[53:54]
	v_or_b32_e32 v0, 0xb00, v0
	v_mov_b32_e32 v4, s59
	v_add_co_u32_e32 v2, vcc, s58, v2
	v_addc_co_u32_e32 v3, vcc, v4, v3, vcc
	v_lshlrev_b32_e32 v4, 2, v0
	v_add_co_u32_e32 v2, vcc, v2, v4
	v_addc_co_u32_e32 v3, vcc, 0, v3, vcc
	global_store_dword v[2:3], v5, off
	v_lshlrev_b32_e32 v2, 3, v34
	s_waitcnt vmcnt(0)
	s_barrier
	v_lshlrev_b32_e32 v0, 3, v0
	ds_write_b64 v2, v[12:13] offset:2048
	v_lshlrev_b32_e32 v2, 3, v31
	ds_write_b64 v2, v[14:15] offset:2048
	;; [unrolled: 2-line block ×12, first 2 shown]
	s_waitcnt lgkmcnt(0)
	s_barrier
	ds_read_b64 v[6:7], v56
	ds_read2st64_b64 v[2:5], v1 offset0:4 offset1:8
	ds_read_b64 v[10:11], v57
	ds_read_b64 v[12:13], v58
	;; [unrolled: 1-line block ×3, first 2 shown]
	s_waitcnt lgkmcnt(4)
	v_lshlrev_b64 v[6:7], 3, v[6:7]
	v_mov_b32_e32 v16, s63
	v_add_co_u32_e32 v6, vcc, s62, v6
	v_addc_co_u32_e32 v7, vcc, v16, v7, vcc
	v_add_co_u32_e32 v6, vcc, v6, v1
	v_addc_co_u32_e32 v7, vcc, 0, v7, vcc
	s_waitcnt lgkmcnt(3)
	global_store_dwordx2 v[6:7], v[2:3], off
	s_waitcnt lgkmcnt(2)
	v_lshlrev_b64 v[2:3], 3, v[10:11]
	v_mov_b32_e32 v6, s63
	v_add_co_u32_e32 v2, vcc, s62, v2
	v_addc_co_u32_e32 v3, vcc, v6, v3, vcc
	v_add_co_u32_e32 v2, vcc, v2, v1
	v_addc_co_u32_e32 v3, vcc, 0, v3, vcc
	s_waitcnt lgkmcnt(1)
	v_lshlrev_b64 v[6:7], 3, v[12:13]
	global_store_dwordx2 v[2:3], v[4:5], off offset:2048
	ds_read2st64_b64 v[2:5], v1 offset0:12 offset1:16
	v_mov_b32_e32 v10, s63
	v_add_co_u32_e32 v6, vcc, s62, v6
	v_addc_co_u32_e32 v7, vcc, v10, v7, vcc
	v_or_b32_e32 v10, 0x1000, v1
	v_add_co_u32_e32 v6, vcc, v6, v10
	v_addc_co_u32_e32 v7, vcc, 0, v7, vcc
	s_waitcnt lgkmcnt(0)
	global_store_dwordx2 v[6:7], v[2:3], off
	v_lshlrev_b64 v[2:3], 3, v[14:15]
	v_mov_b32_e32 v6, s63
	v_add_co_u32_e32 v2, vcc, s62, v2
	v_addc_co_u32_e32 v3, vcc, v6, v3, vcc
	v_or_b32_e32 v6, 0x1800, v1
	v_add_co_u32_e32 v2, vcc, v2, v6
	v_addc_co_u32_e32 v3, vcc, 0, v3, vcc
	global_store_dwordx2 v[2:3], v[4:5], off
	ds_read_b64 v[6:7], v60
	ds_read2st64_b64 v[2:5], v1 offset0:20 offset1:24
	ds_read_b64 v[10:11], v61
	ds_read_b64 v[12:13], v62
	;; [unrolled: 1-line block ×3, first 2 shown]
	s_waitcnt lgkmcnt(4)
	v_lshlrev_b64 v[6:7], 3, v[6:7]
	v_add_co_u32_e32 v6, vcc, s62, v6
	v_addc_co_u32_e32 v7, vcc, v16, v7, vcc
	v_lshlrev_b32_e32 v16, 3, v55
	v_add_co_u32_e32 v6, vcc, v6, v16
	v_addc_co_u32_e32 v7, vcc, 0, v7, vcc
	s_waitcnt lgkmcnt(3)
	global_store_dwordx2 v[6:7], v[2:3], off
	s_waitcnt lgkmcnt(2)
	v_lshlrev_b64 v[2:3], 3, v[10:11]
	v_mov_b32_e32 v6, s63
	v_add_co_u32_e32 v2, vcc, s62, v2
	v_addc_co_u32_e32 v3, vcc, v6, v3, vcc
	v_lshlrev_b32_e32 v6, 3, v18
	v_add_co_u32_e32 v2, vcc, v2, v6
	v_addc_co_u32_e32 v3, vcc, 0, v3, vcc
	s_waitcnt lgkmcnt(1)
	v_lshlrev_b64 v[6:7], 3, v[12:13]
	global_store_dwordx2 v[2:3], v[4:5], off
	ds_read2st64_b64 v[2:5], v1 offset0:28 offset1:32
	v_mov_b32_e32 v10, s63
	v_add_co_u32_e32 v6, vcc, s62, v6
	v_addc_co_u32_e32 v7, vcc, v10, v7, vcc
	v_lshlrev_b32_e32 v10, 3, v30
	v_add_co_u32_e32 v6, vcc, v6, v10
	v_addc_co_u32_e32 v7, vcc, 0, v7, vcc
	s_waitcnt lgkmcnt(0)
	global_store_dwordx2 v[6:7], v[2:3], off
	v_lshlrev_b64 v[2:3], 3, v[14:15]
	v_mov_b32_e32 v6, s63
	v_add_co_u32_e32 v2, vcc, s62, v2
	v_addc_co_u32_e32 v3, vcc, v6, v3, vcc
	v_lshlrev_b32_e32 v6, 3, v64
	v_add_co_u32_e32 v2, vcc, v2, v6
	v_addc_co_u32_e32 v3, vcc, 0, v3, vcc
	global_store_dwordx2 v[2:3], v[4:5], off
	ds_read_b64 v[6:7], v66
	ds_read2st64_b64 v[2:5], v1 offset0:36 offset1:40
	ds_read_b64 v[10:11], v67
	ds_read_b64 v[12:13], v8
	;; [unrolled: 1-line block ×3, first 2 shown]
	s_waitcnt lgkmcnt(4)
	v_lshlrev_b64 v[6:7], 3, v[6:7]
	v_mov_b32_e32 v8, s63
	v_add_co_u32_e32 v6, vcc, s62, v6
	v_addc_co_u32_e32 v7, vcc, v8, v7, vcc
	v_lshlrev_b32_e32 v8, 3, v65
	v_add_co_u32_e32 v6, vcc, v6, v8
	v_addc_co_u32_e32 v7, vcc, 0, v7, vcc
	s_waitcnt lgkmcnt(3)
	global_store_dwordx2 v[6:7], v[2:3], off
	s_waitcnt lgkmcnt(2)
	v_lshlrev_b64 v[2:3], 3, v[10:11]
	v_mov_b32_e32 v6, s63
	v_add_co_u32_e32 v2, vcc, s62, v2
	v_addc_co_u32_e32 v3, vcc, v6, v3, vcc
	v_lshlrev_b32_e32 v6, 3, v69
	v_add_co_u32_e32 v2, vcc, v2, v6
	v_addc_co_u32_e32 v3, vcc, 0, v3, vcc
	s_waitcnt lgkmcnt(1)
	v_lshlrev_b64 v[6:7], 3, v[12:13]
	global_store_dwordx2 v[2:3], v[4:5], off
	ds_read2st64_b64 v[2:5], v1 offset0:44 offset1:48
	v_mov_b32_e32 v8, s63
	v_add_co_u32_e32 v6, vcc, s62, v6
	v_addc_co_u32_e32 v7, vcc, v8, v7, vcc
	v_lshlrev_b32_e32 v8, 3, v70
	v_add_co_u32_e32 v6, vcc, v6, v8
	v_addc_co_u32_e32 v7, vcc, 0, v7, vcc
	s_waitcnt lgkmcnt(0)
	global_store_dwordx2 v[6:7], v[2:3], off
	v_lshlrev_b64 v[2:3], 3, v[14:15]
	v_mov_b32_e32 v6, s63
	v_add_co_u32_e32 v2, vcc, s62, v2
	v_addc_co_u32_e32 v3, vcc, v6, v3, vcc
	v_add_co_u32_e32 v2, vcc, v2, v0
	v_addc_co_u32_e32 v3, vcc, 0, v3, vcc
	global_store_dwordx2 v[2:3], v[4:5], off
	s_cbranch_scc1 .LBB24_195
; %bb.194:
	ds_read_b64 v[2:3], v1
	v_add_co_u32_e32 v0, vcc, v9, v19
	v_addc_co_u32_e64 v4, s[0:1], 0, 0, vcc
	s_waitcnt lgkmcnt(0)
	v_add_co_u32_e32 v2, vcc, v0, v2
	v_addc_co_u32_e32 v3, vcc, v4, v3, vcc
	global_store_dwordx2 v1, v[2:3], s[66:67]
.LBB24_195:
	s_endpgm
.LBB24_196:
	s_or_b64 exec, exec, s[0:1]
	s_and_saveexec_b64 s[0:1], s[26:27]
	s_cbranch_execz .LBB24_139
.LBB24_197:
	v_lshlrev_b32_e32 v3, 3, v62
	ds_read_b64 v[3:4], v3
	ds_read_b64 v[5:6], v32 offset:4096
	v_mov_b32_e32 v7, s63
	s_waitcnt lgkmcnt(1)
	v_lshlrev_b64 v[3:4], 3, v[3:4]
	v_add_co_u32_e32 v3, vcc, s62, v3
	v_addc_co_u32_e32 v4, vcc, v7, v4, vcc
	v_add_co_u32_e32 v3, vcc, v3, v32
	v_addc_co_u32_e32 v4, vcc, 0, v4, vcc
	s_waitcnt lgkmcnt(0)
	global_store_dwordx2 v[3:4], v[5:6], off offset:2048
	s_or_b64 exec, exec, s[0:1]
	s_and_saveexec_b64 s[0:1], s[28:29]
	s_cbranch_execnz .LBB24_140
.LBB24_198:
	s_or_b64 exec, exec, s[0:1]
	s_and_saveexec_b64 s[0:1], s[30:31]
	s_cbranch_execz .LBB24_141
.LBB24_199:
	v_lshlrev_b32_e32 v3, 3, v60
	ds_read_b64 v[3:4], v3
	ds_read_b64 v[5:6], v32 offset:8192
	v_mov_b32_e32 v7, s63
	s_waitcnt lgkmcnt(1)
	v_lshlrev_b64 v[3:4], 3, v[3:4]
	v_add_co_u32_e32 v3, vcc, s62, v3
	v_addc_co_u32_e32 v4, vcc, v7, v4, vcc
	v_lshlrev_b32_e32 v7, 3, v46
	v_add_co_u32_e32 v3, vcc, v3, v7
	v_addc_co_u32_e32 v4, vcc, 0, v4, vcc
	s_waitcnt lgkmcnt(0)
	global_store_dwordx2 v[3:4], v[5:6], off
	s_or_b64 exec, exec, s[0:1]
	s_and_saveexec_b64 s[0:1], s[34:35]
	s_cbranch_execnz .LBB24_142
.LBB24_200:
	s_or_b64 exec, exec, s[0:1]
	s_and_saveexec_b64 s[0:1], s[36:37]
	s_cbranch_execz .LBB24_143
.LBB24_201:
	v_lshlrev_b32_e32 v3, 3, v58
	ds_read_b64 v[3:4], v3
	ds_read_b64 v[5:6], v32 offset:12288
	v_mov_b32_e32 v7, s63
	s_waitcnt lgkmcnt(1)
	v_lshlrev_b64 v[3:4], 3, v[3:4]
	v_add_co_u32_e32 v3, vcc, s62, v3
	v_addc_co_u32_e32 v4, vcc, v7, v4, vcc
	v_lshlrev_b32_e32 v7, 3, v48
	v_add_co_u32_e32 v3, vcc, v3, v7
	v_addc_co_u32_e32 v4, vcc, 0, v4, vcc
	s_waitcnt lgkmcnt(0)
	global_store_dwordx2 v[3:4], v[5:6], off
	s_or_b64 exec, exec, s[0:1]
	s_and_saveexec_b64 s[0:1], s[38:39]
	s_cbranch_execnz .LBB24_144
.LBB24_202:
	s_or_b64 exec, exec, s[0:1]
	s_and_saveexec_b64 s[0:1], s[40:41]
	s_cbranch_execz .LBB24_145
.LBB24_203:
	v_lshlrev_b32_e32 v3, 3, v56
	ds_read_b64 v[3:4], v3
	ds_read_b64 v[5:6], v32 offset:16384
	v_mov_b32_e32 v7, s63
	s_waitcnt lgkmcnt(1)
	v_lshlrev_b64 v[3:4], 3, v[3:4]
	v_add_co_u32_e32 v3, vcc, s62, v3
	v_addc_co_u32_e32 v4, vcc, v7, v4, vcc
	v_lshlrev_b32_e32 v7, 3, v50
	v_add_co_u32_e32 v3, vcc, v3, v7
	v_addc_co_u32_e32 v4, vcc, 0, v4, vcc
	s_waitcnt lgkmcnt(0)
	global_store_dwordx2 v[3:4], v[5:6], off
	s_or_b64 exec, exec, s[0:1]
	s_and_saveexec_b64 s[0:1], s[42:43]
	s_cbranch_execnz .LBB24_146
.LBB24_204:
	s_or_b64 exec, exec, s[0:1]
	s_and_saveexec_b64 s[0:1], s[44:45]
	s_cbranch_execz .LBB24_147
.LBB24_205:
	v_lshlrev_b32_e32 v3, 3, v28
	ds_read_b64 v[3:4], v3
	ds_read_b64 v[5:6], v32 offset:20480
	v_mov_b32_e32 v7, s63
	s_waitcnt lgkmcnt(1)
	v_lshlrev_b64 v[3:4], 3, v[3:4]
	v_add_co_u32_e32 v3, vcc, s62, v3
	v_addc_co_u32_e32 v4, vcc, v7, v4, vcc
	v_lshlrev_b32_e32 v7, 3, v52
	v_add_co_u32_e32 v3, vcc, v3, v7
	v_addc_co_u32_e32 v4, vcc, 0, v4, vcc
	s_waitcnt lgkmcnt(0)
	global_store_dwordx2 v[3:4], v[5:6], off
	s_or_b64 exec, exec, s[0:1]
	s_and_saveexec_b64 s[0:1], s[46:47]
	s_cbranch_execnz .LBB24_148
.LBB24_206:
	s_or_b64 exec, exec, s[0:1]
	s_and_saveexec_b64 s[0:1], s[48:49]
	s_cbranch_execz .LBB24_149
.LBB24_207:
	v_lshlrev_b32_e32 v3, 3, v27
	ds_read_b64 v[3:4], v3
	ds_read_b64 v[5:6], v32 offset:24576
	v_mov_b32_e32 v7, s63
	s_waitcnt lgkmcnt(1)
	v_lshlrev_b64 v[3:4], 3, v[3:4]
	v_add_co_u32_e32 v3, vcc, s62, v3
	v_addc_co_u32_e32 v4, vcc, v7, v4, vcc
	v_lshlrev_b32_e32 v7, 3, v54
	v_add_co_u32_e32 v3, vcc, v3, v7
	v_addc_co_u32_e32 v4, vcc, 0, v4, vcc
	s_waitcnt lgkmcnt(0)
	global_store_dwordx2 v[3:4], v[5:6], off
	s_or_b64 exec, exec, s[0:1]
	s_add_i32 s33, s33, -1
	s_cmp_eq_u32 s6, s33
	s_cbranch_scc1 .LBB24_150
	s_branch .LBB24_151
	.section	.rodata,"a",@progbits
	.p2align	6, 0x0
	.amdhsa_kernel _ZN7rocprim17ROCPRIM_304000_NS6detail25onesweep_iteration_kernelINS1_34wrapped_radix_sort_onesweep_configINS0_14default_configEjN2at4cuda3cub6detail10OpaqueTypeILi8EEEEELb0EPKjPjPKSA_PSA_mNS0_19identity_decomposerEEEvT1_T2_T3_T4_jPT5_SO_PNS1_23onesweep_lookback_stateET6_jjj
		.amdhsa_group_segment_fixed_size 26624
		.amdhsa_private_segment_fixed_size 0
		.amdhsa_kernarg_size 336
		.amdhsa_user_sgpr_count 6
		.amdhsa_user_sgpr_private_segment_buffer 1
		.amdhsa_user_sgpr_dispatch_ptr 0
		.amdhsa_user_sgpr_queue_ptr 0
		.amdhsa_user_sgpr_kernarg_segment_ptr 1
		.amdhsa_user_sgpr_dispatch_id 0
		.amdhsa_user_sgpr_flat_scratch_init 0
		.amdhsa_user_sgpr_private_segment_size 0
		.amdhsa_uses_dynamic_stack 0
		.amdhsa_system_sgpr_private_segment_wavefront_offset 0
		.amdhsa_system_sgpr_workgroup_id_x 1
		.amdhsa_system_sgpr_workgroup_id_y 0
		.amdhsa_system_sgpr_workgroup_id_z 0
		.amdhsa_system_sgpr_workgroup_info 0
		.amdhsa_system_vgpr_workitem_id 2
		.amdhsa_next_free_vgpr 85
		.amdhsa_next_free_sgpr 98
		.amdhsa_reserve_vcc 1
		.amdhsa_reserve_flat_scratch 0
		.amdhsa_float_round_mode_32 0
		.amdhsa_float_round_mode_16_64 0
		.amdhsa_float_denorm_mode_32 3
		.amdhsa_float_denorm_mode_16_64 3
		.amdhsa_dx10_clamp 1
		.amdhsa_ieee_mode 1
		.amdhsa_fp16_overflow 0
		.amdhsa_exception_fp_ieee_invalid_op 0
		.amdhsa_exception_fp_denorm_src 0
		.amdhsa_exception_fp_ieee_div_zero 0
		.amdhsa_exception_fp_ieee_overflow 0
		.amdhsa_exception_fp_ieee_underflow 0
		.amdhsa_exception_fp_ieee_inexact 0
		.amdhsa_exception_int_div_zero 0
	.end_amdhsa_kernel
	.section	.text._ZN7rocprim17ROCPRIM_304000_NS6detail25onesweep_iteration_kernelINS1_34wrapped_radix_sort_onesweep_configINS0_14default_configEjN2at4cuda3cub6detail10OpaqueTypeILi8EEEEELb0EPKjPjPKSA_PSA_mNS0_19identity_decomposerEEEvT1_T2_T3_T4_jPT5_SO_PNS1_23onesweep_lookback_stateET6_jjj,"axG",@progbits,_ZN7rocprim17ROCPRIM_304000_NS6detail25onesweep_iteration_kernelINS1_34wrapped_radix_sort_onesweep_configINS0_14default_configEjN2at4cuda3cub6detail10OpaqueTypeILi8EEEEELb0EPKjPjPKSA_PSA_mNS0_19identity_decomposerEEEvT1_T2_T3_T4_jPT5_SO_PNS1_23onesweep_lookback_stateET6_jjj,comdat
.Lfunc_end24:
	.size	_ZN7rocprim17ROCPRIM_304000_NS6detail25onesweep_iteration_kernelINS1_34wrapped_radix_sort_onesweep_configINS0_14default_configEjN2at4cuda3cub6detail10OpaqueTypeILi8EEEEELb0EPKjPjPKSA_PSA_mNS0_19identity_decomposerEEEvT1_T2_T3_T4_jPT5_SO_PNS1_23onesweep_lookback_stateET6_jjj, .Lfunc_end24-_ZN7rocprim17ROCPRIM_304000_NS6detail25onesweep_iteration_kernelINS1_34wrapped_radix_sort_onesweep_configINS0_14default_configEjN2at4cuda3cub6detail10OpaqueTypeILi8EEEEELb0EPKjPjPKSA_PSA_mNS0_19identity_decomposerEEEvT1_T2_T3_T4_jPT5_SO_PNS1_23onesweep_lookback_stateET6_jjj
                                        ; -- End function
	.set _ZN7rocprim17ROCPRIM_304000_NS6detail25onesweep_iteration_kernelINS1_34wrapped_radix_sort_onesweep_configINS0_14default_configEjN2at4cuda3cub6detail10OpaqueTypeILi8EEEEELb0EPKjPjPKSA_PSA_mNS0_19identity_decomposerEEEvT1_T2_T3_T4_jPT5_SO_PNS1_23onesweep_lookback_stateET6_jjj.num_vgpr, 71
	.set _ZN7rocprim17ROCPRIM_304000_NS6detail25onesweep_iteration_kernelINS1_34wrapped_radix_sort_onesweep_configINS0_14default_configEjN2at4cuda3cub6detail10OpaqueTypeILi8EEEEELb0EPKjPjPKSA_PSA_mNS0_19identity_decomposerEEEvT1_T2_T3_T4_jPT5_SO_PNS1_23onesweep_lookback_stateET6_jjj.num_agpr, 0
	.set _ZN7rocprim17ROCPRIM_304000_NS6detail25onesweep_iteration_kernelINS1_34wrapped_radix_sort_onesweep_configINS0_14default_configEjN2at4cuda3cub6detail10OpaqueTypeILi8EEEEELb0EPKjPjPKSA_PSA_mNS0_19identity_decomposerEEEvT1_T2_T3_T4_jPT5_SO_PNS1_23onesweep_lookback_stateET6_jjj.numbered_sgpr, 75
	.set _ZN7rocprim17ROCPRIM_304000_NS6detail25onesweep_iteration_kernelINS1_34wrapped_radix_sort_onesweep_configINS0_14default_configEjN2at4cuda3cub6detail10OpaqueTypeILi8EEEEELb0EPKjPjPKSA_PSA_mNS0_19identity_decomposerEEEvT1_T2_T3_T4_jPT5_SO_PNS1_23onesweep_lookback_stateET6_jjj.num_named_barrier, 0
	.set _ZN7rocprim17ROCPRIM_304000_NS6detail25onesweep_iteration_kernelINS1_34wrapped_radix_sort_onesweep_configINS0_14default_configEjN2at4cuda3cub6detail10OpaqueTypeILi8EEEEELb0EPKjPjPKSA_PSA_mNS0_19identity_decomposerEEEvT1_T2_T3_T4_jPT5_SO_PNS1_23onesweep_lookback_stateET6_jjj.private_seg_size, 0
	.set _ZN7rocprim17ROCPRIM_304000_NS6detail25onesweep_iteration_kernelINS1_34wrapped_radix_sort_onesweep_configINS0_14default_configEjN2at4cuda3cub6detail10OpaqueTypeILi8EEEEELb0EPKjPjPKSA_PSA_mNS0_19identity_decomposerEEEvT1_T2_T3_T4_jPT5_SO_PNS1_23onesweep_lookback_stateET6_jjj.uses_vcc, 1
	.set _ZN7rocprim17ROCPRIM_304000_NS6detail25onesweep_iteration_kernelINS1_34wrapped_radix_sort_onesweep_configINS0_14default_configEjN2at4cuda3cub6detail10OpaqueTypeILi8EEEEELb0EPKjPjPKSA_PSA_mNS0_19identity_decomposerEEEvT1_T2_T3_T4_jPT5_SO_PNS1_23onesweep_lookback_stateET6_jjj.uses_flat_scratch, 0
	.set _ZN7rocprim17ROCPRIM_304000_NS6detail25onesweep_iteration_kernelINS1_34wrapped_radix_sort_onesweep_configINS0_14default_configEjN2at4cuda3cub6detail10OpaqueTypeILi8EEEEELb0EPKjPjPKSA_PSA_mNS0_19identity_decomposerEEEvT1_T2_T3_T4_jPT5_SO_PNS1_23onesweep_lookback_stateET6_jjj.has_dyn_sized_stack, 0
	.set _ZN7rocprim17ROCPRIM_304000_NS6detail25onesweep_iteration_kernelINS1_34wrapped_radix_sort_onesweep_configINS0_14default_configEjN2at4cuda3cub6detail10OpaqueTypeILi8EEEEELb0EPKjPjPKSA_PSA_mNS0_19identity_decomposerEEEvT1_T2_T3_T4_jPT5_SO_PNS1_23onesweep_lookback_stateET6_jjj.has_recursion, 0
	.set _ZN7rocprim17ROCPRIM_304000_NS6detail25onesweep_iteration_kernelINS1_34wrapped_radix_sort_onesweep_configINS0_14default_configEjN2at4cuda3cub6detail10OpaqueTypeILi8EEEEELb0EPKjPjPKSA_PSA_mNS0_19identity_decomposerEEEvT1_T2_T3_T4_jPT5_SO_PNS1_23onesweep_lookback_stateET6_jjj.has_indirect_call, 0
	.section	.AMDGPU.csdata,"",@progbits
; Kernel info:
; codeLenInByte = 18508
; TotalNumSgprs: 79
; NumVgprs: 71
; ScratchSize: 0
; MemoryBound: 0
; FloatMode: 240
; IeeeMode: 1
; LDSByteSize: 26624 bytes/workgroup (compile time only)
; SGPRBlocks: 12
; VGPRBlocks: 21
; NumSGPRsForWavesPerEU: 102
; NumVGPRsForWavesPerEU: 85
; Occupancy: 2
; WaveLimiterHint : 1
; COMPUTE_PGM_RSRC2:SCRATCH_EN: 0
; COMPUTE_PGM_RSRC2:USER_SGPR: 6
; COMPUTE_PGM_RSRC2:TRAP_HANDLER: 0
; COMPUTE_PGM_RSRC2:TGID_X_EN: 1
; COMPUTE_PGM_RSRC2:TGID_Y_EN: 0
; COMPUTE_PGM_RSRC2:TGID_Z_EN: 0
; COMPUTE_PGM_RSRC2:TIDIG_COMP_CNT: 2
	.section	.text._ZN7rocprim17ROCPRIM_304000_NS6detail25onesweep_iteration_kernelINS1_34wrapped_radix_sort_onesweep_configINS0_14default_configEjN2at4cuda3cub6detail10OpaqueTypeILi8EEEEELb0EPjSC_PSA_SD_mNS0_19identity_decomposerEEEvT1_T2_T3_T4_jPT5_SK_PNS1_23onesweep_lookback_stateET6_jjj,"axG",@progbits,_ZN7rocprim17ROCPRIM_304000_NS6detail25onesweep_iteration_kernelINS1_34wrapped_radix_sort_onesweep_configINS0_14default_configEjN2at4cuda3cub6detail10OpaqueTypeILi8EEEEELb0EPjSC_PSA_SD_mNS0_19identity_decomposerEEEvT1_T2_T3_T4_jPT5_SK_PNS1_23onesweep_lookback_stateET6_jjj,comdat
	.protected	_ZN7rocprim17ROCPRIM_304000_NS6detail25onesweep_iteration_kernelINS1_34wrapped_radix_sort_onesweep_configINS0_14default_configEjN2at4cuda3cub6detail10OpaqueTypeILi8EEEEELb0EPjSC_PSA_SD_mNS0_19identity_decomposerEEEvT1_T2_T3_T4_jPT5_SK_PNS1_23onesweep_lookback_stateET6_jjj ; -- Begin function _ZN7rocprim17ROCPRIM_304000_NS6detail25onesweep_iteration_kernelINS1_34wrapped_radix_sort_onesweep_configINS0_14default_configEjN2at4cuda3cub6detail10OpaqueTypeILi8EEEEELb0EPjSC_PSA_SD_mNS0_19identity_decomposerEEEvT1_T2_T3_T4_jPT5_SK_PNS1_23onesweep_lookback_stateET6_jjj
	.globl	_ZN7rocprim17ROCPRIM_304000_NS6detail25onesweep_iteration_kernelINS1_34wrapped_radix_sort_onesweep_configINS0_14default_configEjN2at4cuda3cub6detail10OpaqueTypeILi8EEEEELb0EPjSC_PSA_SD_mNS0_19identity_decomposerEEEvT1_T2_T3_T4_jPT5_SK_PNS1_23onesweep_lookback_stateET6_jjj
	.p2align	8
	.type	_ZN7rocprim17ROCPRIM_304000_NS6detail25onesweep_iteration_kernelINS1_34wrapped_radix_sort_onesweep_configINS0_14default_configEjN2at4cuda3cub6detail10OpaqueTypeILi8EEEEELb0EPjSC_PSA_SD_mNS0_19identity_decomposerEEEvT1_T2_T3_T4_jPT5_SK_PNS1_23onesweep_lookback_stateET6_jjj,@function
_ZN7rocprim17ROCPRIM_304000_NS6detail25onesweep_iteration_kernelINS1_34wrapped_radix_sort_onesweep_configINS0_14default_configEjN2at4cuda3cub6detail10OpaqueTypeILi8EEEEELb0EPjSC_PSA_SD_mNS0_19identity_decomposerEEEvT1_T2_T3_T4_jPT5_SK_PNS1_23onesweep_lookback_stateET6_jjj: ; @_ZN7rocprim17ROCPRIM_304000_NS6detail25onesweep_iteration_kernelINS1_34wrapped_radix_sort_onesweep_configINS0_14default_configEjN2at4cuda3cub6detail10OpaqueTypeILi8EEEEELb0EPjSC_PSA_SD_mNS0_19identity_decomposerEEEvT1_T2_T3_T4_jPT5_SK_PNS1_23onesweep_lookback_stateET6_jjj
; %bb.0:
	s_load_dwordx8 s[56:63], s[4:5], 0x0
	s_load_dwordx4 s[68:71], s[4:5], 0x44
	s_load_dwordx4 s[64:67], s[4:5], 0x28
	s_load_dwordx2 s[72:73], s[4:5], 0x38
	s_mov_b32 s7, s6
	s_mov_b64 s[0:1], -1
	s_waitcnt lgkmcnt(0)
	s_cmp_ge_u32 s6, s70
	s_mul_i32 s54, s6, 0xc00
	v_mbcnt_lo_u32_b32 v29, -1, 0
	s_cbranch_scc0 .LBB25_152
; %bb.1:
	s_load_dword s2, s[4:5], 0x20
	s_mulk_i32 s70, 0xf400
	s_mov_b32 s55, 0
	s_lshl_b64 s[0:1], s[54:55], 2
	v_mbcnt_hi_u32_b32 v10, -1, v29
	s_waitcnt lgkmcnt(0)
	s_add_i32 s70, s70, s2
	s_add_u32 s0, s56, s0
	s_addc_u32 s1, s57, s1
	v_and_b32_e32 v19, 0xc0, v0
	v_lshlrev_b32_e32 v3, 2, v10
	v_mul_u32_u24_e32 v9, 12, v19
	v_mov_b32_e32 v4, s1
	v_add_co_u32_e32 v3, vcc, s0, v3
	v_addc_co_u32_e32 v4, vcc, 0, v4, vcc
	v_lshlrev_b32_e32 v5, 2, v9
	v_add_co_u32_e32 v3, vcc, v3, v5
	v_addc_co_u32_e32 v4, vcc, 0, v4, vcc
	v_or_b32_e32 v5, v10, v9
	v_mov_b32_e32 v7, -1
	v_cmp_gt_u32_e32 vcc, s70, v5
	v_mov_b32_e32 v8, -1
	s_and_saveexec_b64 s[0:1], vcc
	s_cbranch_execz .LBB25_3
; %bb.2:
	global_load_dword v8, v[3:4], off
.LBB25_3:
	s_or_b64 exec, exec, s[0:1]
	v_add_u32_e32 v6, 64, v5
	v_cmp_gt_u32_e64 s[0:1], s70, v6
	s_and_saveexec_b64 s[2:3], s[0:1]
	s_cbranch_execz .LBB25_5
; %bb.4:
	global_load_dword v7, v[3:4], off offset:256
.LBB25_5:
	s_or_b64 exec, exec, s[2:3]
	v_add_u32_e32 v6, 0x80, v5
	v_cmp_gt_u32_e64 s[2:3], s70, v6
	v_mov_b32_e32 v11, -1
	v_mov_b32_e32 v12, -1
	s_and_saveexec_b64 s[8:9], s[2:3]
	s_cbranch_execz .LBB25_7
; %bb.6:
	global_load_dword v12, v[3:4], off offset:512
.LBB25_7:
	s_or_b64 exec, exec, s[8:9]
	v_add_u32_e32 v6, 0xc0, v5
	v_cmp_gt_u32_e64 s[50:51], s70, v6
	s_and_saveexec_b64 s[8:9], s[50:51]
	s_cbranch_execz .LBB25_9
; %bb.8:
	global_load_dword v11, v[3:4], off offset:768
.LBB25_9:
	s_or_b64 exec, exec, s[8:9]
	v_add_u32_e32 v6, 0x100, v5
	v_cmp_gt_u32_e64 s[8:9], s70, v6
	v_mov_b32_e32 v13, -1
	v_mov_b32_e32 v14, -1
	s_and_saveexec_b64 s[10:11], s[8:9]
	s_cbranch_execz .LBB25_11
; %bb.10:
	global_load_dword v14, v[3:4], off offset:1024
.LBB25_11:
	;; [unrolled: 18-line block ×5, first 2 shown]
	s_or_b64 exec, exec, s[10:11]
	v_add_u32_e32 v5, 0x2c0, v5
	v_cmp_gt_u32_e64 s[10:11], s70, v5
	s_and_saveexec_b64 s[24:25], s[10:11]
	s_cbranch_execz .LBB25_25
; %bb.24:
	global_load_dword v20, v[3:4], off offset:2816
.LBB25_25:
	s_or_b64 exec, exec, s[24:25]
	s_load_dword s24, s[4:5], 0x5c
	s_load_dword s33, s[4:5], 0x50
	s_add_u32 s25, s4, 0x50
	s_addc_u32 s26, s5, 0
	v_mov_b32_e32 v3, 0
	s_waitcnt lgkmcnt(0)
	s_lshr_b32 s27, s24, 16
	s_cmp_lt_u32 s6, s33
	s_cselect_b32 s24, 12, 18
	s_add_u32 s24, s25, s24
	s_addc_u32 s25, s26, 0
	global_load_ushort v5, v3, s[24:25]
	s_lshl_b32 s24, -1, s69
	s_waitcnt vmcnt(1)
	v_lshrrev_b32_e32 v4, s68, v8
	s_not_b32 s74, s24
	v_and_b32_e32 v23, s74, v4
	v_and_b32_e32 v24, 1, v23
	v_add_co_u32_e64 v26, s[24:25], -1, v24
	v_lshlrev_b32_e32 v4, 30, v23
	v_addc_co_u32_e64 v27, s[24:25], 0, -1, s[24:25]
	v_mad_u32_u24 v6, v2, s27, v1
	v_cmp_ne_u32_e64 s[24:25], 0, v24
	v_cmp_gt_i64_e64 s[26:27], 0, v[3:4]
	v_not_b32_e32 v24, v4
	v_lshlrev_b32_e32 v4, 29, v23
	v_xor_b32_e32 v27, s25, v27
	v_xor_b32_e32 v26, s24, v26
	v_ashrrev_i32_e32 v24, 31, v24
	v_cmp_gt_i64_e64 s[24:25], 0, v[3:4]
	v_not_b32_e32 v28, v4
	v_lshlrev_b32_e32 v4, 28, v23
	v_and_b32_e32 v27, exec_hi, v27
	v_and_b32_e32 v26, exec_lo, v26
	v_xor_b32_e32 v30, s27, v24
	v_xor_b32_e32 v24, s26, v24
	v_ashrrev_i32_e32 v28, 31, v28
	v_cmp_gt_i64_e64 s[26:27], 0, v[3:4]
	v_not_b32_e32 v31, v4
	v_lshlrev_b32_e32 v4, 27, v23
	v_and_b32_e32 v27, v27, v30
	v_and_b32_e32 v24, v26, v24
	v_xor_b32_e32 v26, s25, v28
	v_xor_b32_e32 v28, s24, v28
	v_ashrrev_i32_e32 v30, 31, v31
	v_cmp_gt_i64_e64 s[24:25], 0, v[3:4]
	v_not_b32_e32 v31, v4
	v_lshlrev_b32_e32 v4, 26, v23
	v_and_b32_e32 v26, v27, v26
	v_and_b32_e32 v24, v24, v28
	v_xor_b32_e32 v27, s27, v30
	v_xor_b32_e32 v28, s26, v30
	v_ashrrev_i32_e32 v30, 31, v31
	v_cmp_gt_i64_e64 s[26:27], 0, v[3:4]
	v_not_b32_e32 v31, v4
	v_lshlrev_b32_e32 v4, 25, v23
	v_and_b32_e32 v26, v26, v27
	v_and_b32_e32 v24, v24, v28
	v_xor_b32_e32 v27, s25, v30
	v_xor_b32_e32 v28, s24, v30
	v_ashrrev_i32_e32 v30, 31, v31
	v_cmp_gt_i64_e64 s[24:25], 0, v[3:4]
	v_not_b32_e32 v31, v4
	v_mul_lo_u32 v25, v23, 20
	v_lshlrev_b32_e32 v4, 24, v23
	v_and_b32_e32 v23, v26, v27
	v_and_b32_e32 v24, v24, v28
	v_xor_b32_e32 v26, s27, v30
	v_xor_b32_e32 v27, s26, v30
	v_ashrrev_i32_e32 v28, 31, v31
	v_and_b32_e32 v23, v23, v26
	v_and_b32_e32 v24, v24, v27
	v_xor_b32_e32 v26, s25, v28
	v_xor_b32_e32 v27, s24, v28
	v_cmp_gt_i64_e64 s[26:27], 0, v[3:4]
	v_not_b32_e32 v4, v4
	v_and_b32_e32 v26, v23, v26
	v_and_b32_e32 v27, v24, v27
	v_ashrrev_i32_e32 v4, 31, v4
	v_xor_b32_e32 v28, s27, v4
	v_xor_b32_e32 v4, s26, v4
	v_and_b32_e32 v4, v27, v4
	v_mul_u32_u24_e32 v22, 20, v0
	ds_write2_b32 v22, v3, v3 offset0:4 offset1:5
	ds_write2_b32 v22, v3, v3 offset0:6 offset1:7
	ds_write_b32 v22, v3 offset:32
	s_waitcnt vmcnt(0) lgkmcnt(0)
	s_barrier
	; wave barrier
	v_mad_u64_u32 v[23:24], s[24:25], v6, v5, v[0:1]
	v_and_b32_e32 v5, v26, v28
	v_cmp_ne_u64_e64 s[24:25], 0, v[4:5]
	v_lshrrev_b32_e32 v6, 4, v23
	v_mbcnt_lo_u32_b32 v23, v4, 0
	v_mbcnt_hi_u32_b32 v23, v5, v23
	v_and_b32_e32 v6, 0xffffffc, v6
	v_cmp_eq_u32_e64 s[26:27], 0, v23
	s_and_b64 s[26:27], s[24:25], s[26:27]
	v_add_u32_e32 v25, v6, v25
	s_and_saveexec_b64 s[24:25], s[26:27]
; %bb.26:
	v_bcnt_u32_b32 v4, v4, 0
	v_bcnt_u32_b32 v4, v5, v4
	ds_write_b32 v25, v4 offset:16
; %bb.27:
	s_or_b64 exec, exec, s[24:25]
	v_lshrrev_b32_e32 v4, s68, v7
	v_and_b32_e32 v5, s74, v4
	v_mul_lo_u32 v4, v5, 20
	v_and_b32_e32 v27, 1, v5
	; wave barrier
	v_add_u32_e32 v26, v6, v4
	v_add_co_u32_e64 v4, s[24:25], -1, v27
	v_addc_co_u32_e64 v28, s[24:25], 0, -1, s[24:25]
	v_cmp_ne_u32_e64 s[24:25], 0, v27
	v_xor_b32_e32 v4, s24, v4
	v_xor_b32_e32 v27, s25, v28
	v_and_b32_e32 v28, exec_lo, v4
	v_lshlrev_b32_e32 v4, 30, v5
	v_cmp_gt_i64_e64 s[24:25], 0, v[3:4]
	v_not_b32_e32 v4, v4
	v_ashrrev_i32_e32 v4, 31, v4
	v_xor_b32_e32 v30, s25, v4
	v_xor_b32_e32 v4, s24, v4
	v_and_b32_e32 v28, v28, v4
	v_lshlrev_b32_e32 v4, 29, v5
	v_cmp_gt_i64_e64 s[24:25], 0, v[3:4]
	v_not_b32_e32 v4, v4
	v_and_b32_e32 v27, exec_hi, v27
	v_ashrrev_i32_e32 v4, 31, v4
	v_and_b32_e32 v27, v27, v30
	v_xor_b32_e32 v30, s25, v4
	v_xor_b32_e32 v4, s24, v4
	v_and_b32_e32 v28, v28, v4
	v_lshlrev_b32_e32 v4, 28, v5
	v_cmp_gt_i64_e64 s[24:25], 0, v[3:4]
	v_not_b32_e32 v4, v4
	v_ashrrev_i32_e32 v4, 31, v4
	v_and_b32_e32 v27, v27, v30
	v_xor_b32_e32 v30, s25, v4
	v_xor_b32_e32 v4, s24, v4
	v_and_b32_e32 v28, v28, v4
	v_lshlrev_b32_e32 v4, 27, v5
	v_cmp_gt_i64_e64 s[24:25], 0, v[3:4]
	v_not_b32_e32 v4, v4
	;; [unrolled: 8-line block ×5, first 2 shown]
	v_ashrrev_i32_e32 v3, 31, v3
	v_xor_b32_e32 v4, s25, v3
	v_xor_b32_e32 v3, s24, v3
	ds_read_b32 v24, v26 offset:16
	v_and_b32_e32 v27, v27, v30
	v_and_b32_e32 v3, v28, v3
	;; [unrolled: 1-line block ×3, first 2 shown]
	v_mbcnt_lo_u32_b32 v5, v3, 0
	v_mbcnt_hi_u32_b32 v27, v4, v5
	v_cmp_ne_u64_e64 s[24:25], 0, v[3:4]
	v_cmp_eq_u32_e64 s[26:27], 0, v27
	s_and_b64 s[26:27], s[24:25], s[26:27]
	; wave barrier
	s_and_saveexec_b64 s[24:25], s[26:27]
	s_cbranch_execz .LBB25_29
; %bb.28:
	v_bcnt_u32_b32 v3, v3, 0
	v_bcnt_u32_b32 v3, v4, v3
	s_waitcnt lgkmcnt(0)
	v_add_u32_e32 v3, v24, v3
	ds_write_b32 v26, v3 offset:16
.LBB25_29:
	s_or_b64 exec, exec, s[24:25]
	v_lshrrev_b32_e32 v3, s68, v12
	v_and_b32_e32 v5, s74, v3
	v_and_b32_e32 v4, 1, v5
	v_mul_lo_u32 v3, v5, 20
	v_add_co_u32_e64 v31, s[24:25], -1, v4
	v_addc_co_u32_e64 v32, s[24:25], 0, -1, s[24:25]
	v_cmp_ne_u32_e64 s[24:25], 0, v4
	v_xor_b32_e32 v4, s25, v32
	v_add_u32_e32 v30, v6, v3
	v_mov_b32_e32 v3, 0
	v_and_b32_e32 v32, exec_hi, v4
	v_lshlrev_b32_e32 v4, 30, v5
	v_xor_b32_e32 v31, s24, v31
	v_cmp_gt_i64_e64 s[24:25], 0, v[3:4]
	v_not_b32_e32 v4, v4
	v_ashrrev_i32_e32 v4, 31, v4
	v_and_b32_e32 v31, exec_lo, v31
	v_xor_b32_e32 v33, s25, v4
	v_xor_b32_e32 v4, s24, v4
	v_and_b32_e32 v31, v31, v4
	v_lshlrev_b32_e32 v4, 29, v5
	v_cmp_gt_i64_e64 s[24:25], 0, v[3:4]
	v_not_b32_e32 v4, v4
	v_ashrrev_i32_e32 v4, 31, v4
	v_and_b32_e32 v32, v32, v33
	v_xor_b32_e32 v33, s25, v4
	v_xor_b32_e32 v4, s24, v4
	v_and_b32_e32 v31, v31, v4
	v_lshlrev_b32_e32 v4, 28, v5
	v_cmp_gt_i64_e64 s[24:25], 0, v[3:4]
	v_not_b32_e32 v4, v4
	v_ashrrev_i32_e32 v4, 31, v4
	v_and_b32_e32 v32, v32, v33
	;; [unrolled: 8-line block ×5, first 2 shown]
	v_xor_b32_e32 v33, s25, v4
	v_xor_b32_e32 v4, s24, v4
	v_and_b32_e32 v31, v31, v4
	v_lshlrev_b32_e32 v4, 24, v5
	v_cmp_gt_i64_e64 s[24:25], 0, v[3:4]
	v_not_b32_e32 v4, v4
	v_ashrrev_i32_e32 v4, 31, v4
	v_xor_b32_e32 v5, s25, v4
	v_xor_b32_e32 v4, s24, v4
	; wave barrier
	ds_read_b32 v28, v30 offset:16
	v_and_b32_e32 v32, v32, v33
	v_and_b32_e32 v4, v31, v4
	;; [unrolled: 1-line block ×3, first 2 shown]
	v_mbcnt_lo_u32_b32 v31, v4, 0
	v_mbcnt_hi_u32_b32 v31, v5, v31
	v_cmp_ne_u64_e64 s[24:25], 0, v[4:5]
	v_cmp_eq_u32_e64 s[26:27], 0, v31
	s_and_b64 s[26:27], s[24:25], s[26:27]
	; wave barrier
	s_and_saveexec_b64 s[24:25], s[26:27]
	s_cbranch_execz .LBB25_31
; %bb.30:
	v_bcnt_u32_b32 v4, v4, 0
	v_bcnt_u32_b32 v4, v5, v4
	s_waitcnt lgkmcnt(0)
	v_add_u32_e32 v4, v28, v4
	ds_write_b32 v30, v4 offset:16
.LBB25_31:
	s_or_b64 exec, exec, s[24:25]
	v_lshrrev_b32_e32 v4, s68, v11
	v_and_b32_e32 v5, s74, v4
	v_mul_lo_u32 v4, v5, 20
	v_and_b32_e32 v34, 1, v5
	; wave barrier
	v_add_u32_e32 v33, v6, v4
	v_add_co_u32_e64 v4, s[24:25], -1, v34
	v_addc_co_u32_e64 v35, s[24:25], 0, -1, s[24:25]
	v_cmp_ne_u32_e64 s[24:25], 0, v34
	v_xor_b32_e32 v4, s24, v4
	v_xor_b32_e32 v34, s25, v35
	v_and_b32_e32 v35, exec_lo, v4
	v_lshlrev_b32_e32 v4, 30, v5
	v_cmp_gt_i64_e64 s[24:25], 0, v[3:4]
	v_not_b32_e32 v4, v4
	v_ashrrev_i32_e32 v4, 31, v4
	v_xor_b32_e32 v36, s25, v4
	v_xor_b32_e32 v4, s24, v4
	v_and_b32_e32 v35, v35, v4
	v_lshlrev_b32_e32 v4, 29, v5
	v_cmp_gt_i64_e64 s[24:25], 0, v[3:4]
	v_not_b32_e32 v4, v4
	v_and_b32_e32 v34, exec_hi, v34
	v_ashrrev_i32_e32 v4, 31, v4
	v_and_b32_e32 v34, v34, v36
	v_xor_b32_e32 v36, s25, v4
	v_xor_b32_e32 v4, s24, v4
	v_and_b32_e32 v35, v35, v4
	v_lshlrev_b32_e32 v4, 28, v5
	v_cmp_gt_i64_e64 s[24:25], 0, v[3:4]
	v_not_b32_e32 v4, v4
	v_ashrrev_i32_e32 v4, 31, v4
	v_and_b32_e32 v34, v34, v36
	v_xor_b32_e32 v36, s25, v4
	v_xor_b32_e32 v4, s24, v4
	v_and_b32_e32 v35, v35, v4
	v_lshlrev_b32_e32 v4, 27, v5
	v_cmp_gt_i64_e64 s[24:25], 0, v[3:4]
	v_not_b32_e32 v4, v4
	v_ashrrev_i32_e32 v4, 31, v4
	v_and_b32_e32 v34, v34, v36
	v_xor_b32_e32 v36, s25, v4
	v_xor_b32_e32 v4, s24, v4
	v_and_b32_e32 v35, v35, v4
	v_lshlrev_b32_e32 v4, 26, v5
	v_cmp_gt_i64_e64 s[24:25], 0, v[3:4]
	v_not_b32_e32 v4, v4
	v_ashrrev_i32_e32 v4, 31, v4
	v_and_b32_e32 v34, v34, v36
	v_xor_b32_e32 v36, s25, v4
	v_xor_b32_e32 v4, s24, v4
	v_and_b32_e32 v35, v35, v4
	v_lshlrev_b32_e32 v4, 25, v5
	v_cmp_gt_i64_e64 s[24:25], 0, v[3:4]
	v_not_b32_e32 v4, v4
	v_ashrrev_i32_e32 v4, 31, v4
	v_and_b32_e32 v34, v34, v36
	v_xor_b32_e32 v36, s25, v4
	v_xor_b32_e32 v4, s24, v4
	v_and_b32_e32 v35, v35, v4
	v_lshlrev_b32_e32 v4, 24, v5
	v_cmp_gt_i64_e64 s[24:25], 0, v[3:4]
	v_not_b32_e32 v3, v4
	v_ashrrev_i32_e32 v3, 31, v3
	v_xor_b32_e32 v4, s25, v3
	v_xor_b32_e32 v3, s24, v3
	ds_read_b32 v32, v33 offset:16
	v_and_b32_e32 v34, v34, v36
	v_and_b32_e32 v3, v35, v3
	;; [unrolled: 1-line block ×3, first 2 shown]
	v_mbcnt_lo_u32_b32 v5, v3, 0
	v_mbcnt_hi_u32_b32 v34, v4, v5
	v_cmp_ne_u64_e64 s[24:25], 0, v[3:4]
	v_cmp_eq_u32_e64 s[26:27], 0, v34
	s_and_b64 s[26:27], s[24:25], s[26:27]
	; wave barrier
	s_and_saveexec_b64 s[24:25], s[26:27]
	s_cbranch_execz .LBB25_33
; %bb.32:
	v_bcnt_u32_b32 v3, v3, 0
	v_bcnt_u32_b32 v3, v4, v3
	s_waitcnt lgkmcnt(0)
	v_add_u32_e32 v3, v32, v3
	ds_write_b32 v33, v3 offset:16
.LBB25_33:
	s_or_b64 exec, exec, s[24:25]
	v_lshrrev_b32_e32 v3, s68, v14
	v_and_b32_e32 v5, s74, v3
	v_and_b32_e32 v4, 1, v5
	v_mul_lo_u32 v3, v5, 20
	v_add_co_u32_e64 v37, s[24:25], -1, v4
	v_addc_co_u32_e64 v38, s[24:25], 0, -1, s[24:25]
	v_cmp_ne_u32_e64 s[24:25], 0, v4
	v_xor_b32_e32 v4, s25, v38
	v_add_u32_e32 v36, v6, v3
	v_mov_b32_e32 v3, 0
	v_and_b32_e32 v38, exec_hi, v4
	v_lshlrev_b32_e32 v4, 30, v5
	v_xor_b32_e32 v37, s24, v37
	v_cmp_gt_i64_e64 s[24:25], 0, v[3:4]
	v_not_b32_e32 v4, v4
	v_ashrrev_i32_e32 v4, 31, v4
	v_and_b32_e32 v37, exec_lo, v37
	v_xor_b32_e32 v39, s25, v4
	v_xor_b32_e32 v4, s24, v4
	v_and_b32_e32 v37, v37, v4
	v_lshlrev_b32_e32 v4, 29, v5
	v_cmp_gt_i64_e64 s[24:25], 0, v[3:4]
	v_not_b32_e32 v4, v4
	v_ashrrev_i32_e32 v4, 31, v4
	v_and_b32_e32 v38, v38, v39
	v_xor_b32_e32 v39, s25, v4
	v_xor_b32_e32 v4, s24, v4
	v_and_b32_e32 v37, v37, v4
	v_lshlrev_b32_e32 v4, 28, v5
	v_cmp_gt_i64_e64 s[24:25], 0, v[3:4]
	v_not_b32_e32 v4, v4
	v_ashrrev_i32_e32 v4, 31, v4
	v_and_b32_e32 v38, v38, v39
	;; [unrolled: 8-line block ×5, first 2 shown]
	v_xor_b32_e32 v39, s25, v4
	v_xor_b32_e32 v4, s24, v4
	v_and_b32_e32 v37, v37, v4
	v_lshlrev_b32_e32 v4, 24, v5
	v_cmp_gt_i64_e64 s[24:25], 0, v[3:4]
	v_not_b32_e32 v4, v4
	v_ashrrev_i32_e32 v4, 31, v4
	v_xor_b32_e32 v5, s25, v4
	v_xor_b32_e32 v4, s24, v4
	; wave barrier
	ds_read_b32 v35, v36 offset:16
	v_and_b32_e32 v38, v38, v39
	v_and_b32_e32 v4, v37, v4
	;; [unrolled: 1-line block ×3, first 2 shown]
	v_mbcnt_lo_u32_b32 v37, v4, 0
	v_mbcnt_hi_u32_b32 v37, v5, v37
	v_cmp_ne_u64_e64 s[24:25], 0, v[4:5]
	v_cmp_eq_u32_e64 s[26:27], 0, v37
	s_and_b64 s[26:27], s[24:25], s[26:27]
	; wave barrier
	s_and_saveexec_b64 s[24:25], s[26:27]
	s_cbranch_execz .LBB25_35
; %bb.34:
	v_bcnt_u32_b32 v4, v4, 0
	v_bcnt_u32_b32 v4, v5, v4
	s_waitcnt lgkmcnt(0)
	v_add_u32_e32 v4, v35, v4
	ds_write_b32 v36, v4 offset:16
.LBB25_35:
	s_or_b64 exec, exec, s[24:25]
	v_lshrrev_b32_e32 v4, s68, v13
	v_and_b32_e32 v5, s74, v4
	v_mul_lo_u32 v4, v5, 20
	v_and_b32_e32 v40, 1, v5
	; wave barrier
	v_add_u32_e32 v39, v6, v4
	v_add_co_u32_e64 v4, s[24:25], -1, v40
	v_addc_co_u32_e64 v41, s[24:25], 0, -1, s[24:25]
	v_cmp_ne_u32_e64 s[24:25], 0, v40
	v_xor_b32_e32 v4, s24, v4
	v_xor_b32_e32 v40, s25, v41
	v_and_b32_e32 v41, exec_lo, v4
	v_lshlrev_b32_e32 v4, 30, v5
	v_cmp_gt_i64_e64 s[24:25], 0, v[3:4]
	v_not_b32_e32 v4, v4
	v_ashrrev_i32_e32 v4, 31, v4
	v_xor_b32_e32 v42, s25, v4
	v_xor_b32_e32 v4, s24, v4
	v_and_b32_e32 v41, v41, v4
	v_lshlrev_b32_e32 v4, 29, v5
	v_cmp_gt_i64_e64 s[24:25], 0, v[3:4]
	v_not_b32_e32 v4, v4
	v_and_b32_e32 v40, exec_hi, v40
	v_ashrrev_i32_e32 v4, 31, v4
	v_and_b32_e32 v40, v40, v42
	v_xor_b32_e32 v42, s25, v4
	v_xor_b32_e32 v4, s24, v4
	v_and_b32_e32 v41, v41, v4
	v_lshlrev_b32_e32 v4, 28, v5
	v_cmp_gt_i64_e64 s[24:25], 0, v[3:4]
	v_not_b32_e32 v4, v4
	v_ashrrev_i32_e32 v4, 31, v4
	v_and_b32_e32 v40, v40, v42
	v_xor_b32_e32 v42, s25, v4
	v_xor_b32_e32 v4, s24, v4
	v_and_b32_e32 v41, v41, v4
	v_lshlrev_b32_e32 v4, 27, v5
	v_cmp_gt_i64_e64 s[24:25], 0, v[3:4]
	v_not_b32_e32 v4, v4
	;; [unrolled: 8-line block ×5, first 2 shown]
	v_ashrrev_i32_e32 v3, 31, v3
	v_xor_b32_e32 v4, s25, v3
	v_xor_b32_e32 v3, s24, v3
	ds_read_b32 v38, v39 offset:16
	v_and_b32_e32 v40, v40, v42
	v_and_b32_e32 v3, v41, v3
	;; [unrolled: 1-line block ×3, first 2 shown]
	v_mbcnt_lo_u32_b32 v5, v3, 0
	v_mbcnt_hi_u32_b32 v45, v4, v5
	v_cmp_ne_u64_e64 s[24:25], 0, v[3:4]
	v_cmp_eq_u32_e64 s[26:27], 0, v45
	s_and_b64 s[26:27], s[24:25], s[26:27]
	; wave barrier
	s_and_saveexec_b64 s[24:25], s[26:27]
	s_cbranch_execz .LBB25_37
; %bb.36:
	v_bcnt_u32_b32 v3, v3, 0
	v_bcnt_u32_b32 v3, v4, v3
	s_waitcnt lgkmcnt(0)
	v_add_u32_e32 v3, v38, v3
	ds_write_b32 v39, v3 offset:16
.LBB25_37:
	s_or_b64 exec, exec, s[24:25]
	v_lshrrev_b32_e32 v3, s68, v16
	v_and_b32_e32 v5, s74, v3
	v_and_b32_e32 v4, 1, v5
	v_mul_lo_u32 v3, v5, 20
	v_add_co_u32_e64 v41, s[24:25], -1, v4
	v_addc_co_u32_e64 v42, s[24:25], 0, -1, s[24:25]
	v_cmp_ne_u32_e64 s[24:25], 0, v4
	v_xor_b32_e32 v4, s25, v42
	v_add_u32_e32 v40, v6, v3
	v_mov_b32_e32 v3, 0
	v_and_b32_e32 v42, exec_hi, v4
	v_lshlrev_b32_e32 v4, 30, v5
	v_xor_b32_e32 v41, s24, v41
	v_cmp_gt_i64_e64 s[24:25], 0, v[3:4]
	v_not_b32_e32 v4, v4
	v_ashrrev_i32_e32 v4, 31, v4
	v_and_b32_e32 v41, exec_lo, v41
	v_xor_b32_e32 v43, s25, v4
	v_xor_b32_e32 v4, s24, v4
	v_and_b32_e32 v41, v41, v4
	v_lshlrev_b32_e32 v4, 29, v5
	v_cmp_gt_i64_e64 s[24:25], 0, v[3:4]
	v_not_b32_e32 v4, v4
	v_ashrrev_i32_e32 v4, 31, v4
	v_and_b32_e32 v42, v42, v43
	v_xor_b32_e32 v43, s25, v4
	v_xor_b32_e32 v4, s24, v4
	v_and_b32_e32 v41, v41, v4
	v_lshlrev_b32_e32 v4, 28, v5
	v_cmp_gt_i64_e64 s[24:25], 0, v[3:4]
	v_not_b32_e32 v4, v4
	v_ashrrev_i32_e32 v4, 31, v4
	v_and_b32_e32 v42, v42, v43
	;; [unrolled: 8-line block ×5, first 2 shown]
	v_xor_b32_e32 v43, s25, v4
	v_xor_b32_e32 v4, s24, v4
	v_and_b32_e32 v41, v41, v4
	v_lshlrev_b32_e32 v4, 24, v5
	v_cmp_gt_i64_e64 s[24:25], 0, v[3:4]
	v_not_b32_e32 v4, v4
	v_ashrrev_i32_e32 v4, 31, v4
	v_xor_b32_e32 v5, s25, v4
	v_xor_b32_e32 v4, s24, v4
	; wave barrier
	ds_read_b32 v46, v40 offset:16
	v_and_b32_e32 v42, v42, v43
	v_and_b32_e32 v4, v41, v4
	;; [unrolled: 1-line block ×3, first 2 shown]
	v_mbcnt_lo_u32_b32 v41, v4, 0
	v_mbcnt_hi_u32_b32 v47, v5, v41
	v_cmp_ne_u64_e64 s[24:25], 0, v[4:5]
	v_cmp_eq_u32_e64 s[26:27], 0, v47
	s_and_b64 s[26:27], s[24:25], s[26:27]
	; wave barrier
	s_and_saveexec_b64 s[24:25], s[26:27]
	s_cbranch_execz .LBB25_39
; %bb.38:
	v_bcnt_u32_b32 v4, v4, 0
	v_bcnt_u32_b32 v4, v5, v4
	s_waitcnt lgkmcnt(0)
	v_add_u32_e32 v4, v46, v4
	ds_write_b32 v40, v4 offset:16
.LBB25_39:
	s_or_b64 exec, exec, s[24:25]
	v_lshrrev_b32_e32 v4, s68, v15
	v_and_b32_e32 v5, s74, v4
	v_mul_lo_u32 v4, v5, 20
	v_and_b32_e32 v42, 1, v5
	; wave barrier
	v_add_u32_e32 v41, v6, v4
	v_add_co_u32_e64 v4, s[24:25], -1, v42
	v_addc_co_u32_e64 v43, s[24:25], 0, -1, s[24:25]
	v_cmp_ne_u32_e64 s[24:25], 0, v42
	v_xor_b32_e32 v4, s24, v4
	v_xor_b32_e32 v42, s25, v43
	v_and_b32_e32 v43, exec_lo, v4
	v_lshlrev_b32_e32 v4, 30, v5
	v_cmp_gt_i64_e64 s[24:25], 0, v[3:4]
	v_not_b32_e32 v4, v4
	v_ashrrev_i32_e32 v4, 31, v4
	v_xor_b32_e32 v44, s25, v4
	v_xor_b32_e32 v4, s24, v4
	v_and_b32_e32 v43, v43, v4
	v_lshlrev_b32_e32 v4, 29, v5
	v_cmp_gt_i64_e64 s[24:25], 0, v[3:4]
	v_not_b32_e32 v4, v4
	v_and_b32_e32 v42, exec_hi, v42
	v_ashrrev_i32_e32 v4, 31, v4
	v_and_b32_e32 v42, v42, v44
	v_xor_b32_e32 v44, s25, v4
	v_xor_b32_e32 v4, s24, v4
	v_and_b32_e32 v43, v43, v4
	v_lshlrev_b32_e32 v4, 28, v5
	v_cmp_gt_i64_e64 s[24:25], 0, v[3:4]
	v_not_b32_e32 v4, v4
	v_ashrrev_i32_e32 v4, 31, v4
	v_and_b32_e32 v42, v42, v44
	v_xor_b32_e32 v44, s25, v4
	v_xor_b32_e32 v4, s24, v4
	v_and_b32_e32 v43, v43, v4
	v_lshlrev_b32_e32 v4, 27, v5
	v_cmp_gt_i64_e64 s[24:25], 0, v[3:4]
	v_not_b32_e32 v4, v4
	;; [unrolled: 8-line block ×5, first 2 shown]
	v_ashrrev_i32_e32 v3, 31, v3
	v_xor_b32_e32 v4, s25, v3
	v_xor_b32_e32 v3, s24, v3
	ds_read_b32 v48, v41 offset:16
	v_and_b32_e32 v42, v42, v44
	v_and_b32_e32 v3, v43, v3
	;; [unrolled: 1-line block ×3, first 2 shown]
	v_mbcnt_lo_u32_b32 v5, v3, 0
	v_mbcnt_hi_u32_b32 v49, v4, v5
	v_cmp_ne_u64_e64 s[24:25], 0, v[3:4]
	v_cmp_eq_u32_e64 s[26:27], 0, v49
	s_and_b64 s[26:27], s[24:25], s[26:27]
	; wave barrier
	s_and_saveexec_b64 s[24:25], s[26:27]
	s_cbranch_execz .LBB25_41
; %bb.40:
	v_bcnt_u32_b32 v3, v3, 0
	v_bcnt_u32_b32 v3, v4, v3
	s_waitcnt lgkmcnt(0)
	v_add_u32_e32 v3, v48, v3
	ds_write_b32 v41, v3 offset:16
.LBB25_41:
	s_or_b64 exec, exec, s[24:25]
	v_lshrrev_b32_e32 v3, s68, v18
	v_and_b32_e32 v5, s74, v3
	v_and_b32_e32 v4, 1, v5
	v_mul_lo_u32 v3, v5, 20
	v_add_co_u32_e64 v43, s[24:25], -1, v4
	v_addc_co_u32_e64 v44, s[24:25], 0, -1, s[24:25]
	v_cmp_ne_u32_e64 s[24:25], 0, v4
	v_xor_b32_e32 v4, s25, v44
	v_add_u32_e32 v42, v6, v3
	v_mov_b32_e32 v3, 0
	v_and_b32_e32 v44, exec_hi, v4
	v_lshlrev_b32_e32 v4, 30, v5
	v_xor_b32_e32 v43, s24, v43
	v_cmp_gt_i64_e64 s[24:25], 0, v[3:4]
	v_not_b32_e32 v4, v4
	v_ashrrev_i32_e32 v4, 31, v4
	v_and_b32_e32 v43, exec_lo, v43
	v_xor_b32_e32 v51, s25, v4
	v_xor_b32_e32 v4, s24, v4
	v_and_b32_e32 v43, v43, v4
	v_lshlrev_b32_e32 v4, 29, v5
	v_cmp_gt_i64_e64 s[24:25], 0, v[3:4]
	v_not_b32_e32 v4, v4
	v_ashrrev_i32_e32 v4, 31, v4
	v_and_b32_e32 v44, v44, v51
	v_xor_b32_e32 v51, s25, v4
	v_xor_b32_e32 v4, s24, v4
	v_and_b32_e32 v43, v43, v4
	v_lshlrev_b32_e32 v4, 28, v5
	v_cmp_gt_i64_e64 s[24:25], 0, v[3:4]
	v_not_b32_e32 v4, v4
	v_ashrrev_i32_e32 v4, 31, v4
	v_and_b32_e32 v44, v44, v51
	;; [unrolled: 8-line block ×5, first 2 shown]
	v_xor_b32_e32 v51, s25, v4
	v_xor_b32_e32 v4, s24, v4
	v_and_b32_e32 v43, v43, v4
	v_lshlrev_b32_e32 v4, 24, v5
	v_cmp_gt_i64_e64 s[24:25], 0, v[3:4]
	v_not_b32_e32 v4, v4
	v_ashrrev_i32_e32 v4, 31, v4
	v_xor_b32_e32 v5, s25, v4
	v_xor_b32_e32 v4, s24, v4
	; wave barrier
	ds_read_b32 v50, v42 offset:16
	v_and_b32_e32 v44, v44, v51
	v_and_b32_e32 v4, v43, v4
	;; [unrolled: 1-line block ×3, first 2 shown]
	v_mbcnt_lo_u32_b32 v43, v4, 0
	v_mbcnt_hi_u32_b32 v51, v5, v43
	v_cmp_ne_u64_e64 s[24:25], 0, v[4:5]
	v_cmp_eq_u32_e64 s[26:27], 0, v51
	s_and_b64 s[26:27], s[24:25], s[26:27]
	; wave barrier
	s_and_saveexec_b64 s[24:25], s[26:27]
	s_cbranch_execz .LBB25_43
; %bb.42:
	v_bcnt_u32_b32 v4, v4, 0
	v_bcnt_u32_b32 v4, v5, v4
	s_waitcnt lgkmcnt(0)
	v_add_u32_e32 v4, v50, v4
	ds_write_b32 v42, v4 offset:16
.LBB25_43:
	s_or_b64 exec, exec, s[24:25]
	v_lshrrev_b32_e32 v4, s68, v17
	v_and_b32_e32 v5, s74, v4
	v_mul_lo_u32 v4, v5, 20
	v_and_b32_e32 v44, 1, v5
	; wave barrier
	v_add_u32_e32 v43, v6, v4
	v_add_co_u32_e64 v4, s[24:25], -1, v44
	v_addc_co_u32_e64 v53, s[24:25], 0, -1, s[24:25]
	v_cmp_ne_u32_e64 s[24:25], 0, v44
	v_xor_b32_e32 v4, s24, v4
	v_xor_b32_e32 v44, s25, v53
	v_and_b32_e32 v53, exec_lo, v4
	v_lshlrev_b32_e32 v4, 30, v5
	v_cmp_gt_i64_e64 s[24:25], 0, v[3:4]
	v_not_b32_e32 v4, v4
	v_ashrrev_i32_e32 v4, 31, v4
	v_xor_b32_e32 v54, s25, v4
	v_xor_b32_e32 v4, s24, v4
	v_and_b32_e32 v53, v53, v4
	v_lshlrev_b32_e32 v4, 29, v5
	v_cmp_gt_i64_e64 s[24:25], 0, v[3:4]
	v_not_b32_e32 v4, v4
	v_and_b32_e32 v44, exec_hi, v44
	v_ashrrev_i32_e32 v4, 31, v4
	v_and_b32_e32 v44, v44, v54
	v_xor_b32_e32 v54, s25, v4
	v_xor_b32_e32 v4, s24, v4
	v_and_b32_e32 v53, v53, v4
	v_lshlrev_b32_e32 v4, 28, v5
	v_cmp_gt_i64_e64 s[24:25], 0, v[3:4]
	v_not_b32_e32 v4, v4
	v_ashrrev_i32_e32 v4, 31, v4
	v_and_b32_e32 v44, v44, v54
	v_xor_b32_e32 v54, s25, v4
	v_xor_b32_e32 v4, s24, v4
	v_and_b32_e32 v53, v53, v4
	v_lshlrev_b32_e32 v4, 27, v5
	v_cmp_gt_i64_e64 s[24:25], 0, v[3:4]
	v_not_b32_e32 v4, v4
	v_ashrrev_i32_e32 v4, 31, v4
	v_and_b32_e32 v44, v44, v54
	v_xor_b32_e32 v54, s25, v4
	v_xor_b32_e32 v4, s24, v4
	v_and_b32_e32 v53, v53, v4
	v_lshlrev_b32_e32 v4, 26, v5
	v_cmp_gt_i64_e64 s[24:25], 0, v[3:4]
	v_not_b32_e32 v4, v4
	v_ashrrev_i32_e32 v4, 31, v4
	v_and_b32_e32 v44, v44, v54
	v_xor_b32_e32 v54, s25, v4
	v_xor_b32_e32 v4, s24, v4
	v_and_b32_e32 v53, v53, v4
	v_lshlrev_b32_e32 v4, 25, v5
	v_cmp_gt_i64_e64 s[24:25], 0, v[3:4]
	v_not_b32_e32 v4, v4
	v_ashrrev_i32_e32 v4, 31, v4
	v_and_b32_e32 v44, v44, v54
	v_xor_b32_e32 v54, s25, v4
	v_xor_b32_e32 v4, s24, v4
	v_and_b32_e32 v53, v53, v4
	v_lshlrev_b32_e32 v4, 24, v5
	v_cmp_gt_i64_e64 s[24:25], 0, v[3:4]
	v_not_b32_e32 v3, v4
	v_ashrrev_i32_e32 v3, 31, v3
	v_xor_b32_e32 v4, s25, v3
	v_xor_b32_e32 v3, s24, v3
	ds_read_b32 v52, v43 offset:16
	v_and_b32_e32 v44, v44, v54
	v_and_b32_e32 v3, v53, v3
	;; [unrolled: 1-line block ×3, first 2 shown]
	v_mbcnt_lo_u32_b32 v5, v3, 0
	v_mbcnt_hi_u32_b32 v53, v4, v5
	v_cmp_ne_u64_e64 s[24:25], 0, v[3:4]
	v_cmp_eq_u32_e64 s[26:27], 0, v53
	s_and_b64 s[26:27], s[24:25], s[26:27]
	; wave barrier
	s_and_saveexec_b64 s[24:25], s[26:27]
	s_cbranch_execz .LBB25_45
; %bb.44:
	v_bcnt_u32_b32 v3, v3, 0
	v_bcnt_u32_b32 v3, v4, v3
	s_waitcnt lgkmcnt(0)
	v_add_u32_e32 v3, v52, v3
	ds_write_b32 v43, v3 offset:16
.LBB25_45:
	s_or_b64 exec, exec, s[24:25]
	v_lshrrev_b32_e32 v3, s68, v21
	v_and_b32_e32 v5, s74, v3
	v_and_b32_e32 v4, 1, v5
	v_mul_lo_u32 v3, v5, 20
	v_add_co_u32_e64 v55, s[24:25], -1, v4
	v_addc_co_u32_e64 v56, s[24:25], 0, -1, s[24:25]
	v_cmp_ne_u32_e64 s[24:25], 0, v4
	v_xor_b32_e32 v4, s25, v56
	v_add_u32_e32 v44, v6, v3
	v_mov_b32_e32 v3, 0
	v_and_b32_e32 v56, exec_hi, v4
	v_lshlrev_b32_e32 v4, 30, v5
	v_xor_b32_e32 v55, s24, v55
	v_cmp_gt_i64_e64 s[24:25], 0, v[3:4]
	v_not_b32_e32 v4, v4
	v_ashrrev_i32_e32 v4, 31, v4
	v_and_b32_e32 v55, exec_lo, v55
	v_xor_b32_e32 v57, s25, v4
	v_xor_b32_e32 v4, s24, v4
	v_and_b32_e32 v55, v55, v4
	v_lshlrev_b32_e32 v4, 29, v5
	v_cmp_gt_i64_e64 s[24:25], 0, v[3:4]
	v_not_b32_e32 v4, v4
	v_ashrrev_i32_e32 v4, 31, v4
	v_and_b32_e32 v56, v56, v57
	v_xor_b32_e32 v57, s25, v4
	v_xor_b32_e32 v4, s24, v4
	v_and_b32_e32 v55, v55, v4
	v_lshlrev_b32_e32 v4, 28, v5
	v_cmp_gt_i64_e64 s[24:25], 0, v[3:4]
	v_not_b32_e32 v4, v4
	v_ashrrev_i32_e32 v4, 31, v4
	v_and_b32_e32 v56, v56, v57
	;; [unrolled: 8-line block ×5, first 2 shown]
	v_xor_b32_e32 v57, s25, v4
	v_xor_b32_e32 v4, s24, v4
	v_and_b32_e32 v55, v55, v4
	v_lshlrev_b32_e32 v4, 24, v5
	v_cmp_gt_i64_e64 s[24:25], 0, v[3:4]
	v_not_b32_e32 v4, v4
	v_ashrrev_i32_e32 v4, 31, v4
	v_xor_b32_e32 v5, s25, v4
	v_xor_b32_e32 v4, s24, v4
	; wave barrier
	ds_read_b32 v54, v44 offset:16
	v_and_b32_e32 v56, v56, v57
	v_and_b32_e32 v4, v55, v4
	;; [unrolled: 1-line block ×3, first 2 shown]
	v_mbcnt_lo_u32_b32 v55, v4, 0
	v_mbcnt_hi_u32_b32 v55, v5, v55
	v_cmp_ne_u64_e64 s[24:25], 0, v[4:5]
	v_cmp_eq_u32_e64 s[26:27], 0, v55
	s_and_b64 s[26:27], s[24:25], s[26:27]
	; wave barrier
	s_and_saveexec_b64 s[24:25], s[26:27]
	s_cbranch_execz .LBB25_47
; %bb.46:
	v_bcnt_u32_b32 v4, v4, 0
	v_bcnt_u32_b32 v4, v5, v4
	s_waitcnt lgkmcnt(0)
	v_add_u32_e32 v4, v54, v4
	ds_write_b32 v44, v4 offset:16
.LBB25_47:
	s_or_b64 exec, exec, s[24:25]
	v_lshrrev_b32_e32 v4, s68, v20
	v_and_b32_e32 v5, s74, v4
	v_mul_lo_u32 v4, v5, 20
	v_and_b32_e32 v58, 1, v5
	; wave barrier
	v_add_u32_e32 v57, v6, v4
	v_add_co_u32_e64 v4, s[24:25], -1, v58
	v_addc_co_u32_e64 v6, s[24:25], 0, -1, s[24:25]
	v_cmp_ne_u32_e64 s[24:25], 0, v58
	v_xor_b32_e32 v4, s24, v4
	v_and_b32_e32 v58, exec_lo, v4
	v_lshlrev_b32_e32 v4, 30, v5
	v_xor_b32_e32 v6, s25, v6
	v_cmp_gt_i64_e64 s[24:25], 0, v[3:4]
	v_not_b32_e32 v4, v4
	v_ashrrev_i32_e32 v4, 31, v4
	v_xor_b32_e32 v59, s25, v4
	v_xor_b32_e32 v4, s24, v4
	v_and_b32_e32 v58, v58, v4
	v_lshlrev_b32_e32 v4, 29, v5
	v_cmp_gt_i64_e64 s[24:25], 0, v[3:4]
	v_not_b32_e32 v4, v4
	v_and_b32_e32 v6, exec_hi, v6
	v_ashrrev_i32_e32 v4, 31, v4
	v_and_b32_e32 v6, v6, v59
	v_xor_b32_e32 v59, s25, v4
	v_xor_b32_e32 v4, s24, v4
	v_and_b32_e32 v58, v58, v4
	v_lshlrev_b32_e32 v4, 28, v5
	v_cmp_gt_i64_e64 s[24:25], 0, v[3:4]
	v_not_b32_e32 v4, v4
	v_ashrrev_i32_e32 v4, 31, v4
	v_and_b32_e32 v6, v6, v59
	v_xor_b32_e32 v59, s25, v4
	v_xor_b32_e32 v4, s24, v4
	v_and_b32_e32 v58, v58, v4
	v_lshlrev_b32_e32 v4, 27, v5
	v_cmp_gt_i64_e64 s[24:25], 0, v[3:4]
	v_not_b32_e32 v4, v4
	;; [unrolled: 8-line block ×5, first 2 shown]
	v_ashrrev_i32_e32 v3, 31, v3
	v_xor_b32_e32 v4, s25, v3
	v_xor_b32_e32 v3, s24, v3
	ds_read_b32 v56, v57 offset:16
	v_and_b32_e32 v6, v6, v59
	v_and_b32_e32 v3, v58, v3
	;; [unrolled: 1-line block ×3, first 2 shown]
	v_mbcnt_lo_u32_b32 v5, v3, 0
	v_mbcnt_hi_u32_b32 v58, v4, v5
	v_cmp_ne_u64_e64 s[24:25], 0, v[3:4]
	v_cmp_eq_u32_e64 s[26:27], 0, v58
	s_and_b64 s[26:27], s[24:25], s[26:27]
	; wave barrier
	s_and_saveexec_b64 s[24:25], s[26:27]
	s_cbranch_execz .LBB25_49
; %bb.48:
	v_bcnt_u32_b32 v3, v3, 0
	v_bcnt_u32_b32 v3, v4, v3
	s_waitcnt lgkmcnt(0)
	v_add_u32_e32 v3, v56, v3
	ds_write_b32 v57, v3 offset:16
.LBB25_49:
	s_or_b64 exec, exec, s[24:25]
	; wave barrier
	s_waitcnt lgkmcnt(0)
	s_barrier
	ds_read2_b32 v[5:6], v22 offset0:4 offset1:5
	ds_read2_b32 v[3:4], v22 offset0:6 offset1:7
	ds_read_b32 v59, v22 offset:32
	v_min_u32_e32 v19, 0xc0, v19
	v_or_b32_e32 v19, 63, v19
	s_waitcnt lgkmcnt(1)
	v_add3_u32 v60, v6, v5, v3
	s_waitcnt lgkmcnt(0)
	v_add3_u32 v59, v60, v4, v59
	v_and_b32_e32 v60, 15, v10
	v_cmp_ne_u32_e64 s[24:25], 0, v60
	v_mov_b32_dpp v61, v59 row_shr:1 row_mask:0xf bank_mask:0xf
	v_cndmask_b32_e64 v61, 0, v61, s[24:25]
	v_add_u32_e32 v59, v61, v59
	v_cmp_lt_u32_e64 s[24:25], 1, v60
	s_nop 0
	v_mov_b32_dpp v61, v59 row_shr:2 row_mask:0xf bank_mask:0xf
	v_cndmask_b32_e64 v61, 0, v61, s[24:25]
	v_add_u32_e32 v59, v59, v61
	v_cmp_lt_u32_e64 s[24:25], 3, v60
	s_nop 0
	;; [unrolled: 5-line block ×3, first 2 shown]
	v_mov_b32_dpp v61, v59 row_shr:8 row_mask:0xf bank_mask:0xf
	v_cndmask_b32_e64 v60, 0, v61, s[24:25]
	v_add_u32_e32 v59, v59, v60
	v_bfe_i32 v61, v10, 4, 1
	v_cmp_lt_u32_e64 s[24:25], 31, v10
	v_mov_b32_dpp v60, v59 row_bcast:15 row_mask:0xf bank_mask:0xf
	v_and_b32_e32 v60, v61, v60
	v_add_u32_e32 v59, v59, v60
	s_nop 1
	v_mov_b32_dpp v60, v59 row_bcast:31 row_mask:0xf bank_mask:0xf
	v_cndmask_b32_e64 v60, 0, v60, s[24:25]
	v_add_u32_e32 v59, v59, v60
	v_lshrrev_b32_e32 v60, 6, v0
	v_cmp_eq_u32_e64 s[24:25], v0, v19
	s_and_saveexec_b64 s[26:27], s[24:25]
; %bb.50:
	v_lshlrev_b32_e32 v19, 2, v60
	ds_write_b32 v19, v59
; %bb.51:
	s_or_b64 exec, exec, s[26:27]
	v_cmp_gt_u32_e64 s[24:25], 4, v0
	s_waitcnt lgkmcnt(0)
	s_barrier
	s_and_saveexec_b64 s[26:27], s[24:25]
	s_cbranch_execz .LBB25_53
; %bb.52:
	v_lshlrev_b32_e32 v19, 2, v0
	ds_read_b32 v61, v19
	v_and_b32_e32 v62, 3, v10
	v_cmp_ne_u32_e64 s[24:25], 0, v62
	s_waitcnt lgkmcnt(0)
	v_mov_b32_dpp v63, v61 row_shr:1 row_mask:0xf bank_mask:0xf
	v_cndmask_b32_e64 v63, 0, v63, s[24:25]
	v_add_u32_e32 v61, v63, v61
	v_cmp_lt_u32_e64 s[24:25], 1, v62
	s_nop 0
	v_mov_b32_dpp v63, v61 row_shr:2 row_mask:0xf bank_mask:0xf
	v_cndmask_b32_e64 v62, 0, v63, s[24:25]
	v_add_u32_e32 v61, v61, v62
	ds_write_b32 v19, v61
.LBB25_53:
	s_or_b64 exec, exec, s[26:27]
	v_cmp_lt_u32_e64 s[24:25], 63, v0
	v_mov_b32_e32 v19, 0
	s_waitcnt lgkmcnt(0)
	s_barrier
	s_and_saveexec_b64 s[26:27], s[24:25]
; %bb.54:
	v_lshl_add_u32 v19, v60, 2, -4
	ds_read_b32 v19, v19
; %bb.55:
	s_or_b64 exec, exec, s[26:27]
	v_add_u32_e32 v60, -1, v10
	v_and_b32_e32 v61, 64, v10
	v_cmp_lt_i32_e64 s[24:25], v60, v61
	v_cndmask_b32_e64 v60, v60, v10, s[24:25]
	s_waitcnt lgkmcnt(0)
	v_add_u32_e32 v59, v19, v59
	v_lshlrev_b32_e32 v60, 2, v60
	ds_bpermute_b32 v59, v60, v59
	v_cmp_eq_u32_e64 s[24:25], 0, v10
	s_waitcnt lgkmcnt(0)
	v_cndmask_b32_e64 v19, v59, v19, s[24:25]
	v_cmp_ne_u32_e64 s[24:25], 0, v0
	v_cndmask_b32_e64 v19, 0, v19, s[24:25]
	v_add_u32_e32 v5, v19, v5
	v_add_u32_e32 v6, v5, v6
	;; [unrolled: 1-line block ×4, first 2 shown]
	ds_write2_b32 v22, v19, v5 offset0:4 offset1:5
	ds_write2_b32 v22, v6, v3 offset0:6 offset1:7
	ds_write_b32 v22, v4 offset:32
	s_waitcnt lgkmcnt(0)
	s_barrier
	ds_read_b32 v4, v25 offset:16
	ds_read_b32 v5, v42 offset:16
	;; [unrolled: 1-line block ×13, first 2 shown]
	v_add_u32_e32 v22, 1, v0
	s_movk_i32 s24, 0x100
	v_cmp_ne_u32_e64 s[24:25], s24, v22
	v_mov_b32_e32 v3, 0xc00
	s_and_saveexec_b64 s[26:27], s[24:25]
; %bb.56:
	v_mul_u32_u24_e32 v3, 20, v22
	ds_read_b32 v3, v3 offset:16
; %bb.57:
	s_or_b64 exec, exec, s[26:27]
	s_waitcnt lgkmcnt(12)
	v_add_u32_e32 v44, v4, v23
	s_waitcnt lgkmcnt(7)
	v_add3_u32 v43, v27, v24, v26
	v_lshlrev_b32_e32 v4, 2, v44
	s_waitcnt lgkmcnt(6)
	v_add3_u32 v42, v31, v28, v42
	s_waitcnt lgkmcnt(0)
	s_barrier
	ds_write_b32 v4, v8 offset:2048
	v_lshlrev_b32_e32 v4, 2, v43
	v_add3_u32 v41, v34, v32, v33
	ds_write_b32 v4, v7 offset:2048
	v_lshlrev_b32_e32 v4, 2, v42
	v_add3_u32 v40, v37, v35, v36
	ds_write_b32 v4, v12 offset:2048
	v_lshlrev_b32_e32 v4, 2, v41
	v_add3_u32 v39, v45, v38, v39
	ds_write_b32 v4, v11 offset:2048
	v_lshlrev_b32_e32 v4, 2, v40
	v_add3_u32 v38, v47, v46, v57
	ds_write_b32 v4, v14 offset:2048
	v_lshlrev_b32_e32 v4, 2, v39
	v_add3_u32 v37, v49, v48, v59
	ds_write_b32 v4, v13 offset:2048
	v_lshlrev_b32_e32 v4, 2, v38
	v_add3_u32 v36, v51, v50, v5
	ds_write_b32 v4, v16 offset:2048
	v_lshlrev_b32_e32 v4, 2, v37
	v_add3_u32 v35, v53, v52, v6
	ds_write_b32 v4, v15 offset:2048
	v_lshlrev_b32_e32 v4, 2, v36
	v_add3_u32 v34, v55, v54, v19
	ds_write_b32 v4, v18 offset:2048
	v_lshlrev_b32_e32 v4, 2, v35
	v_add3_u32 v33, v58, v56, v25
	ds_write_b32 v4, v17 offset:2048
	v_lshlrev_b32_e32 v4, 2, v34
	ds_write_b32 v4, v21 offset:2048
	v_lshlrev_b32_e32 v4, 2, v33
	ds_write_b32 v4, v20 offset:2048
	v_sub_u32_e32 v31, v3, v30
	v_lshl_or_b32 v3, s6, 8, v0
	v_mov_b32_e32 v4, 0
	v_lshlrev_b64 v[5:6], 2, v[3:4]
	v_mov_b32_e32 v11, s73
	v_add_co_u32_e64 v5, s[24:25], s72, v5
	v_addc_co_u32_e64 v6, s[24:25], v11, v6, s[24:25]
	v_or_b32_e32 v3, 2.0, v31
	s_mov_b64 s[26:27], 0
	s_brev_b32 s34, -4
	s_mov_b32 s35, s7
	v_mov_b32_e32 v12, 0
	s_waitcnt lgkmcnt(0)
	s_barrier
	global_store_dword v[5:6], v3, off
                                        ; implicit-def: $sgpr24_sgpr25
	s_branch .LBB25_60
.LBB25_58:                              ;   in Loop: Header=BB25_60 Depth=1
	s_or_b64 exec, exec, s[30:31]
.LBB25_59:                              ;   in Loop: Header=BB25_60 Depth=1
	s_or_b64 exec, exec, s[28:29]
	v_and_b32_e32 v7, 0x3fffffff, v3
	v_add_u32_e32 v12, v7, v12
	v_cmp_gt_i32_e64 s[24:25], -2.0, v3
	s_and_b64 s[28:29], exec, s[24:25]
	s_or_b64 s[26:27], s[28:29], s[26:27]
	s_andn2_b64 exec, exec, s[26:27]
	s_cbranch_execz .LBB25_65
.LBB25_60:                              ; =>This Loop Header: Depth=1
                                        ;     Child Loop BB25_63 Depth 2
	s_or_b64 s[24:25], s[24:25], exec
	s_cmp_eq_u32 s35, 0
	s_cbranch_scc1 .LBB25_64
; %bb.61:                               ;   in Loop: Header=BB25_60 Depth=1
	s_add_i32 s35, s35, -1
	v_lshl_or_b32 v3, s35, 8, v0
	v_lshlrev_b64 v[7:8], 2, v[3:4]
	v_add_co_u32_e64 v7, s[24:25], s72, v7
	v_addc_co_u32_e64 v8, s[24:25], v11, v8, s[24:25]
	global_load_dword v3, v[7:8], off glc
	s_waitcnt vmcnt(0)
	v_cmp_gt_u32_e64 s[24:25], 2.0, v3
	s_and_saveexec_b64 s[28:29], s[24:25]
	s_cbranch_execz .LBB25_59
; %bb.62:                               ;   in Loop: Header=BB25_60 Depth=1
	s_mov_b64 s[30:31], 0
.LBB25_63:                              ;   Parent Loop BB25_60 Depth=1
                                        ; =>  This Inner Loop Header: Depth=2
	global_load_dword v3, v[7:8], off glc
	s_waitcnt vmcnt(0)
	v_cmp_lt_u32_e64 s[24:25], s34, v3
	s_or_b64 s[30:31], s[24:25], s[30:31]
	s_andn2_b64 exec, exec, s[30:31]
	s_cbranch_execnz .LBB25_63
	s_branch .LBB25_58
.LBB25_64:                              ;   in Loop: Header=BB25_60 Depth=1
                                        ; implicit-def: $sgpr35
	s_and_b64 s[28:29], exec, s[24:25]
	s_or_b64 s[26:27], s[28:29], s[26:27]
	s_andn2_b64 exec, exec, s[26:27]
	s_cbranch_execnz .LBB25_60
.LBB25_65:
	s_or_b64 exec, exec, s[26:27]
	v_add_u32_e32 v3, v12, v31
	v_or_b32_e32 v3, 0x80000000, v3
	v_lshlrev_b32_e32 v32, 3, v0
	global_store_dword v[5:6], v3, off
	global_load_dwordx2 v[3:4], v32, s[64:65]
	v_sub_co_u32_e64 v5, s[24:25], v12, v30
	v_subb_co_u32_e64 v6, s[24:25], 0, 0, s[24:25]
	s_waitcnt vmcnt(0)
	v_add_co_u32_e64 v3, s[24:25], v5, v3
	v_addc_co_u32_e64 v4, s[24:25], v6, v4, s[24:25]
	v_cmp_gt_u32_e64 s[24:25], s70, v0
	ds_write_b64 v32, v[3:4]
	s_waitcnt lgkmcnt(0)
	s_barrier
	s_and_saveexec_b64 s[28:29], s[24:25]
	s_cbranch_execz .LBB25_67
; %bb.66:
	v_lshlrev_b32_e32 v5, 2, v0
	v_sub_u32_e32 v3, v32, v5
	ds_read_b32 v6, v3 offset:2048
	v_mov_b32_e32 v7, s59
	s_waitcnt lgkmcnt(0)
	v_lshrrev_b32_e32 v3, s68, v6
	v_and_b32_e32 v3, s74, v3
	v_lshlrev_b32_e32 v3, 3, v3
	ds_read_b64 v[3:4], v3
	s_waitcnt lgkmcnt(0)
	v_lshlrev_b64 v[3:4], 2, v[3:4]
	v_add_co_u32_e64 v3, s[26:27], s58, v3
	v_addc_co_u32_e64 v4, s[26:27], v7, v4, s[26:27]
	v_add_co_u32_e64 v3, s[26:27], v3, v5
	v_addc_co_u32_e64 v4, s[26:27], 0, v4, s[26:27]
	global_store_dword v[3:4], v6, off
.LBB25_67:
	s_or_b64 exec, exec, s[28:29]
	v_or_b32_e32 v3, 0x100, v0
	v_cmp_gt_u32_e64 s[26:27], s70, v3
	s_and_saveexec_b64 s[30:31], s[26:27]
	s_cbranch_execz .LBB25_69
; %bb.68:
	v_lshlrev_b32_e32 v5, 2, v0
	v_sub_u32_e32 v3, v32, v5
	ds_read_b32 v6, v3 offset:3072
	v_mov_b32_e32 v7, s59
	s_waitcnt lgkmcnt(0)
	v_lshrrev_b32_e32 v3, s68, v6
	v_and_b32_e32 v3, s74, v3
	v_lshlrev_b32_e32 v3, 3, v3
	ds_read_b64 v[3:4], v3
	s_waitcnt lgkmcnt(0)
	v_lshlrev_b64 v[3:4], 2, v[3:4]
	v_add_co_u32_e64 v3, s[28:29], s58, v3
	v_addc_co_u32_e64 v4, s[28:29], v7, v4, s[28:29]
	v_add_co_u32_e64 v3, s[28:29], v3, v5
	v_addc_co_u32_e64 v4, s[28:29], 0, v4, s[28:29]
	global_store_dword v[3:4], v6, off offset:1024
.LBB25_69:
	s_or_b64 exec, exec, s[30:31]
	v_or_b32_e32 v45, 0x200, v0
	v_cmp_gt_u32_e64 s[28:29], s70, v45
	s_and_saveexec_b64 s[34:35], s[28:29]
	s_cbranch_execz .LBB25_71
; %bb.70:
	v_lshlrev_b32_e32 v5, 2, v0
	v_sub_u32_e32 v3, v32, v5
	ds_read_b32 v6, v3 offset:4096
	v_mov_b32_e32 v7, s59
	s_waitcnt lgkmcnt(0)
	v_lshrrev_b32_e32 v3, s68, v6
	v_and_b32_e32 v3, s74, v3
	v_lshlrev_b32_e32 v3, 3, v3
	ds_read_b64 v[3:4], v3
	s_waitcnt lgkmcnt(0)
	v_lshlrev_b64 v[3:4], 2, v[3:4]
	v_add_co_u32_e64 v3, s[30:31], s58, v3
	v_addc_co_u32_e64 v4, s[30:31], v7, v4, s[30:31]
	v_add_co_u32_e64 v3, s[30:31], v3, v5
	v_addc_co_u32_e64 v4, s[30:31], 0, v4, s[30:31]
	global_store_dword v[3:4], v6, off offset:2048
.LBB25_71:
	;; [unrolled: 23-line block ×3, first 2 shown]
	s_or_b64 exec, exec, s[36:37]
	v_or_b32_e32 v47, 0x400, v0
	v_cmp_gt_u32_e64 s[34:35], s70, v47
	s_and_saveexec_b64 s[38:39], s[34:35]
	s_cbranch_execz .LBB25_75
; %bb.74:
	v_lshlrev_b32_e32 v3, 2, v0
	v_sub_u32_e32 v3, v32, v3
	ds_read_b32 v5, v3 offset:6144
	v_mov_b32_e32 v6, s59
	v_lshlrev_b32_e32 v7, 2, v47
	s_waitcnt lgkmcnt(0)
	v_lshrrev_b32_e32 v3, s68, v5
	v_and_b32_e32 v3, s74, v3
	v_lshlrev_b32_e32 v3, 3, v3
	ds_read_b64 v[3:4], v3
	s_waitcnt lgkmcnt(0)
	v_lshlrev_b64 v[3:4], 2, v[3:4]
	v_add_co_u32_e64 v3, s[36:37], s58, v3
	v_addc_co_u32_e64 v4, s[36:37], v6, v4, s[36:37]
	v_add_co_u32_e64 v3, s[36:37], v3, v7
	v_addc_co_u32_e64 v4, s[36:37], 0, v4, s[36:37]
	global_store_dword v[3:4], v5, off
.LBB25_75:
	s_or_b64 exec, exec, s[38:39]
	v_or_b32_e32 v48, 0x500, v0
	v_cmp_gt_u32_e64 s[36:37], s70, v48
	s_and_saveexec_b64 s[40:41], s[36:37]
	s_cbranch_execz .LBB25_77
; %bb.76:
	v_lshlrev_b32_e32 v3, 2, v0
	v_sub_u32_e32 v3, v32, v3
	ds_read_b32 v5, v3 offset:7168
	v_mov_b32_e32 v6, s59
	v_lshlrev_b32_e32 v7, 2, v48
	s_waitcnt lgkmcnt(0)
	v_lshrrev_b32_e32 v3, s68, v5
	v_and_b32_e32 v3, s74, v3
	v_lshlrev_b32_e32 v3, 3, v3
	ds_read_b64 v[3:4], v3
	s_waitcnt lgkmcnt(0)
	v_lshlrev_b64 v[3:4], 2, v[3:4]
	v_add_co_u32_e64 v3, s[38:39], s58, v3
	v_addc_co_u32_e64 v4, s[38:39], v6, v4, s[38:39]
	v_add_co_u32_e64 v3, s[38:39], v3, v7
	v_addc_co_u32_e64 v4, s[38:39], 0, v4, s[38:39]
	global_store_dword v[3:4], v5, off
.LBB25_77:
	;; [unrolled: 24-line block ×3, first 2 shown]
	s_or_b64 exec, exec, s[42:43]
	v_or_b32_e32 v50, 0x700, v0
	v_cmp_gt_u32_e64 s[40:41], s70, v50
	s_and_saveexec_b64 s[44:45], s[40:41]
	s_cbranch_execz .LBB25_81
; %bb.80:
	v_lshlrev_b32_e32 v3, 2, v0
	ds_read_b32 v5, v3 offset:9216
	v_mov_b32_e32 v6, s59
	v_lshlrev_b32_e32 v7, 2, v50
	s_waitcnt lgkmcnt(0)
	v_lshrrev_b32_e32 v3, s68, v5
	v_and_b32_e32 v3, s74, v3
	v_lshlrev_b32_e32 v3, 3, v3
	ds_read_b64 v[3:4], v3
	s_waitcnt lgkmcnt(0)
	v_lshlrev_b64 v[3:4], 2, v[3:4]
	v_add_co_u32_e64 v3, s[42:43], s58, v3
	v_addc_co_u32_e64 v4, s[42:43], v6, v4, s[42:43]
	v_add_co_u32_e64 v3, s[42:43], v3, v7
	v_addc_co_u32_e64 v4, s[42:43], 0, v4, s[42:43]
	global_store_dword v[3:4], v5, off
.LBB25_81:
	s_or_b64 exec, exec, s[44:45]
	v_or_b32_e32 v51, 0x800, v0
	v_cmp_gt_u32_e64 s[42:43], s70, v51
	s_and_saveexec_b64 s[46:47], s[42:43]
	s_cbranch_execz .LBB25_83
; %bb.82:
	v_lshlrev_b32_e32 v3, 2, v0
	ds_read_b32 v5, v3 offset:10240
	v_mov_b32_e32 v6, s59
	v_lshlrev_b32_e32 v7, 2, v51
	s_waitcnt lgkmcnt(0)
	v_lshrrev_b32_e32 v3, s68, v5
	v_and_b32_e32 v3, s74, v3
	v_lshlrev_b32_e32 v3, 3, v3
	ds_read_b64 v[3:4], v3
	s_waitcnt lgkmcnt(0)
	v_lshlrev_b64 v[3:4], 2, v[3:4]
	v_add_co_u32_e64 v3, s[44:45], s58, v3
	v_addc_co_u32_e64 v4, s[44:45], v6, v4, s[44:45]
	v_add_co_u32_e64 v3, s[44:45], v3, v7
	v_addc_co_u32_e64 v4, s[44:45], 0, v4, s[44:45]
	global_store_dword v[3:4], v5, off
.LBB25_83:
	;; [unrolled: 23-line block ×5, first 2 shown]
	s_or_b64 exec, exec, s[70:71]
	s_lshl_b64 s[52:53], s[54:55], 3
	s_add_u32 s52, s60, s52
	s_addc_u32 s53, s61, s53
	v_lshlrev_b32_e32 v3, 3, v10
	v_mov_b32_e32 v4, s53
	v_add_co_u32_e64 v3, s[52:53], s52, v3
	v_addc_co_u32_e64 v4, s[52:53], 0, v4, s[52:53]
	v_lshlrev_b32_e32 v5, 3, v9
	v_add_co_u32_e64 v27, s[52:53], v3, v5
	v_addc_co_u32_e64 v28, s[52:53], 0, v4, s[52:53]
                                        ; implicit-def: $vgpr3_vgpr4
	s_and_saveexec_b64 s[52:53], vcc
	s_xor_b64 s[52:53], exec, s[52:53]
	s_cbranch_execz .LBB25_101
; %bb.90:
	global_load_dwordx2 v[3:4], v[27:28], off
	s_or_b64 exec, exec, s[52:53]
                                        ; implicit-def: $vgpr5_vgpr6
	s_and_saveexec_b64 s[52:53], s[0:1]
	s_cbranch_execnz .LBB25_102
.LBB25_91:
	s_or_b64 exec, exec, s[52:53]
                                        ; implicit-def: $vgpr7_vgpr8
	s_and_saveexec_b64 s[0:1], s[2:3]
	s_cbranch_execz .LBB25_103
.LBB25_92:
	global_load_dwordx2 v[7:8], v[27:28], off offset:1024
	s_or_b64 exec, exec, s[0:1]
                                        ; implicit-def: $vgpr9_vgpr10
	s_and_saveexec_b64 s[0:1], s[50:51]
	s_cbranch_execnz .LBB25_104
.LBB25_93:
	s_or_b64 exec, exec, s[0:1]
                                        ; implicit-def: $vgpr11_vgpr12
	s_and_saveexec_b64 s[0:1], s[8:9]
	s_cbranch_execz .LBB25_105
.LBB25_94:
	global_load_dwordx2 v[11:12], v[27:28], off offset:2048
	s_or_b64 exec, exec, s[0:1]
                                        ; implicit-def: $vgpr13_vgpr14
	s_and_saveexec_b64 s[0:1], s[12:13]
	s_cbranch_execnz .LBB25_106
.LBB25_95:
	s_or_b64 exec, exec, s[0:1]
                                        ; implicit-def: $vgpr15_vgpr16
	s_and_saveexec_b64 s[0:1], s[16:17]
	s_cbranch_execz .LBB25_107
.LBB25_96:
	global_load_dwordx2 v[15:16], v[27:28], off offset:3072
	s_or_b64 exec, exec, s[0:1]
                                        ; implicit-def: $vgpr17_vgpr18
	s_and_saveexec_b64 s[0:1], s[20:21]
	s_cbranch_execnz .LBB25_108
.LBB25_97:
	s_or_b64 exec, exec, s[0:1]
                                        ; implicit-def: $vgpr19_vgpr20
	s_and_saveexec_b64 s[0:1], s[22:23]
	s_cbranch_execz .LBB25_109
.LBB25_98:
	v_add_co_u32_e32 v19, vcc, 0x1000, v27
	v_addc_co_u32_e32 v20, vcc, 0, v28, vcc
	global_load_dwordx2 v[19:20], v[19:20], off
	s_or_b64 exec, exec, s[0:1]
                                        ; implicit-def: $vgpr21_vgpr22
	s_and_saveexec_b64 s[0:1], s[18:19]
	s_cbranch_execnz .LBB25_110
.LBB25_99:
	s_or_b64 exec, exec, s[0:1]
                                        ; implicit-def: $vgpr23_vgpr24
	s_and_saveexec_b64 s[0:1], s[14:15]
	s_cbranch_execz .LBB25_111
.LBB25_100:
	v_add_co_u32_e32 v23, vcc, 0x1000, v27
	v_addc_co_u32_e32 v24, vcc, 0, v28, vcc
	global_load_dwordx2 v[23:24], v[23:24], off offset:1024
	s_or_b64 exec, exec, s[0:1]
                                        ; implicit-def: $vgpr25_vgpr26
	s_and_saveexec_b64 s[0:1], s[10:11]
	s_cbranch_execnz .LBB25_112
	s_branch .LBB25_113
.LBB25_101:
	s_or_b64 exec, exec, s[52:53]
                                        ; implicit-def: $vgpr5_vgpr6
	s_and_saveexec_b64 s[52:53], s[0:1]
	s_cbranch_execz .LBB25_91
.LBB25_102:
	global_load_dwordx2 v[5:6], v[27:28], off offset:512
	s_or_b64 exec, exec, s[52:53]
                                        ; implicit-def: $vgpr7_vgpr8
	s_and_saveexec_b64 s[0:1], s[2:3]
	s_cbranch_execnz .LBB25_92
.LBB25_103:
	s_or_b64 exec, exec, s[0:1]
                                        ; implicit-def: $vgpr9_vgpr10
	s_and_saveexec_b64 s[0:1], s[50:51]
	s_cbranch_execz .LBB25_93
.LBB25_104:
	global_load_dwordx2 v[9:10], v[27:28], off offset:1536
	s_or_b64 exec, exec, s[0:1]
                                        ; implicit-def: $vgpr11_vgpr12
	s_and_saveexec_b64 s[0:1], s[8:9]
	s_cbranch_execnz .LBB25_94
.LBB25_105:
	s_or_b64 exec, exec, s[0:1]
                                        ; implicit-def: $vgpr13_vgpr14
	s_and_saveexec_b64 s[0:1], s[12:13]
	s_cbranch_execz .LBB25_95
.LBB25_106:
	global_load_dwordx2 v[13:14], v[27:28], off offset:2560
	s_or_b64 exec, exec, s[0:1]
                                        ; implicit-def: $vgpr15_vgpr16
	s_and_saveexec_b64 s[0:1], s[16:17]
	s_cbranch_execnz .LBB25_96
.LBB25_107:
	s_or_b64 exec, exec, s[0:1]
                                        ; implicit-def: $vgpr17_vgpr18
	s_and_saveexec_b64 s[0:1], s[20:21]
	s_cbranch_execz .LBB25_97
.LBB25_108:
	global_load_dwordx2 v[17:18], v[27:28], off offset:3584
	s_or_b64 exec, exec, s[0:1]
                                        ; implicit-def: $vgpr19_vgpr20
	s_and_saveexec_b64 s[0:1], s[22:23]
	s_cbranch_execnz .LBB25_98
.LBB25_109:
	s_or_b64 exec, exec, s[0:1]
                                        ; implicit-def: $vgpr21_vgpr22
	s_and_saveexec_b64 s[0:1], s[18:19]
	s_cbranch_execz .LBB25_99
.LBB25_110:
	v_add_co_u32_e32 v21, vcc, 0x1000, v27
	v_addc_co_u32_e32 v22, vcc, 0, v28, vcc
	global_load_dwordx2 v[21:22], v[21:22], off offset:512
	s_or_b64 exec, exec, s[0:1]
                                        ; implicit-def: $vgpr23_vgpr24
	s_and_saveexec_b64 s[0:1], s[14:15]
	s_cbranch_execnz .LBB25_100
.LBB25_111:
	s_or_b64 exec, exec, s[0:1]
                                        ; implicit-def: $vgpr25_vgpr26
	s_and_saveexec_b64 s[0:1], s[10:11]
	s_cbranch_execz .LBB25_113
.LBB25_112:
	v_add_co_u32_e32 v25, vcc, 0x1000, v27
	v_addc_co_u32_e32 v26, vcc, 0, v28, vcc
	global_load_dwordx2 v[25:26], v[25:26], off offset:1536
.LBB25_113:
	s_or_b64 exec, exec, s[0:1]
	v_mov_b32_e32 v62, 0
	v_mov_b32_e32 v64, 0
	s_and_saveexec_b64 s[0:1], s[24:25]
	s_cbranch_execz .LBB25_115
; %bb.114:
	v_lshlrev_b32_e32 v27, 2, v0
	ds_read_b32 v27, v27 offset:2048
	s_waitcnt lgkmcnt(0)
	v_lshrrev_b32_e32 v27, s68, v27
	v_and_b32_e32 v64, s74, v27
.LBB25_115:
	s_or_b64 exec, exec, s[0:1]
	s_and_saveexec_b64 s[0:1], s[26:27]
	s_cbranch_execz .LBB25_117
; %bb.116:
	v_lshlrev_b32_e32 v27, 2, v0
	ds_read_b32 v27, v27 offset:3072
	s_waitcnt lgkmcnt(0)
	v_lshrrev_b32_e32 v27, s68, v27
	v_and_b32_e32 v62, s74, v27
.LBB25_117:
	s_or_b64 exec, exec, s[0:1]
	v_mov_b32_e32 v60, 0
	v_mov_b32_e32 v63, 0
	s_and_saveexec_b64 s[0:1], s[28:29]
	s_cbranch_execz .LBB25_119
; %bb.118:
	v_lshlrev_b32_e32 v27, 2, v0
	ds_read_b32 v27, v27 offset:4096
	s_waitcnt lgkmcnt(0)
	v_lshrrev_b32_e32 v27, s68, v27
	v_and_b32_e32 v63, s74, v27
.LBB25_119:
	s_or_b64 exec, exec, s[0:1]
	s_and_saveexec_b64 s[0:1], s[30:31]
	s_cbranch_execz .LBB25_121
; %bb.120:
	v_lshlrev_b32_e32 v27, 2, v0
	ds_read_b32 v27, v27 offset:5120
	s_waitcnt lgkmcnt(0)
	v_lshrrev_b32_e32 v27, s68, v27
	v_and_b32_e32 v60, s74, v27
.LBB25_121:
	;; [unrolled: 22-line block ×6, first 2 shown]
	s_or_b64 exec, exec, s[0:1]
	v_lshlrev_b32_e32 v44, 3, v44
	s_waitcnt vmcnt(0)
	s_barrier
	ds_write_b64 v44, v[3:4] offset:2048
	v_lshlrev_b32_e32 v3, 3, v43
	ds_write_b64 v3, v[5:6] offset:2048
	v_lshlrev_b32_e32 v3, 3, v42
	;; [unrolled: 2-line block ×11, first 2 shown]
	ds_write_b64 v3, v[25:26] offset:2048
	s_waitcnt lgkmcnt(0)
	s_barrier
	s_and_saveexec_b64 s[0:1], s[24:25]
	s_cbranch_execz .LBB25_196
; %bb.138:
	v_lshlrev_b32_e32 v3, 3, v64
	ds_read_b64 v[3:4], v3
	ds_read_b64 v[5:6], v32 offset:2048
	v_mov_b32_e32 v7, s63
	s_waitcnt lgkmcnt(1)
	v_lshlrev_b64 v[3:4], 3, v[3:4]
	v_add_co_u32_e32 v3, vcc, s62, v3
	v_addc_co_u32_e32 v4, vcc, v7, v4, vcc
	v_add_co_u32_e32 v3, vcc, v3, v32
	v_addc_co_u32_e32 v4, vcc, 0, v4, vcc
	s_waitcnt lgkmcnt(0)
	global_store_dwordx2 v[3:4], v[5:6], off
	s_or_b64 exec, exec, s[0:1]
	s_and_saveexec_b64 s[0:1], s[26:27]
	s_cbranch_execnz .LBB25_197
.LBB25_139:
	s_or_b64 exec, exec, s[0:1]
	s_and_saveexec_b64 s[0:1], s[28:29]
	s_cbranch_execz .LBB25_198
.LBB25_140:
	v_lshlrev_b32_e32 v3, 3, v63
	ds_read_b64 v[3:4], v3
	ds_read_b64 v[5:6], v32 offset:6144
	v_mov_b32_e32 v7, s63
	s_waitcnt lgkmcnt(1)
	v_lshlrev_b64 v[3:4], 3, v[3:4]
	v_add_co_u32_e32 v3, vcc, s62, v3
	v_addc_co_u32_e32 v4, vcc, v7, v4, vcc
	v_lshlrev_b32_e32 v7, 3, v45
	v_add_co_u32_e32 v3, vcc, v3, v7
	v_addc_co_u32_e32 v4, vcc, 0, v4, vcc
	s_waitcnt lgkmcnt(0)
	global_store_dwordx2 v[3:4], v[5:6], off
	s_or_b64 exec, exec, s[0:1]
	s_and_saveexec_b64 s[0:1], s[30:31]
	s_cbranch_execnz .LBB25_199
.LBB25_141:
	s_or_b64 exec, exec, s[0:1]
	s_and_saveexec_b64 s[0:1], s[34:35]
	s_cbranch_execz .LBB25_200
.LBB25_142:
	v_lshlrev_b32_e32 v3, 3, v61
	ds_read_b64 v[3:4], v3
	ds_read_b64 v[5:6], v32 offset:10240
	v_mov_b32_e32 v7, s63
	s_waitcnt lgkmcnt(1)
	v_lshlrev_b64 v[3:4], 3, v[3:4]
	v_add_co_u32_e32 v3, vcc, s62, v3
	v_addc_co_u32_e32 v4, vcc, v7, v4, vcc
	v_lshlrev_b32_e32 v7, 3, v47
	v_add_co_u32_e32 v3, vcc, v3, v7
	v_addc_co_u32_e32 v4, vcc, 0, v4, vcc
	s_waitcnt lgkmcnt(0)
	global_store_dwordx2 v[3:4], v[5:6], off
	s_or_b64 exec, exec, s[0:1]
	s_and_saveexec_b64 s[0:1], s[36:37]
	s_cbranch_execnz .LBB25_201
.LBB25_143:
	s_or_b64 exec, exec, s[0:1]
	s_and_saveexec_b64 s[0:1], s[38:39]
	s_cbranch_execz .LBB25_202
.LBB25_144:
	v_lshlrev_b32_e32 v3, 3, v59
	ds_read_b64 v[3:4], v3
	ds_read_b64 v[5:6], v32 offset:14336
	v_mov_b32_e32 v7, s63
	s_waitcnt lgkmcnt(1)
	v_lshlrev_b64 v[3:4], 3, v[3:4]
	v_add_co_u32_e32 v3, vcc, s62, v3
	v_addc_co_u32_e32 v4, vcc, v7, v4, vcc
	v_lshlrev_b32_e32 v7, 3, v49
	v_add_co_u32_e32 v3, vcc, v3, v7
	v_addc_co_u32_e32 v4, vcc, 0, v4, vcc
	s_waitcnt lgkmcnt(0)
	global_store_dwordx2 v[3:4], v[5:6], off
	s_or_b64 exec, exec, s[0:1]
	s_and_saveexec_b64 s[0:1], s[40:41]
	s_cbranch_execnz .LBB25_203
.LBB25_145:
	s_or_b64 exec, exec, s[0:1]
	s_and_saveexec_b64 s[0:1], s[42:43]
	s_cbranch_execz .LBB25_204
.LBB25_146:
	v_lshlrev_b32_e32 v3, 3, v57
	ds_read_b64 v[3:4], v3
	ds_read_b64 v[5:6], v32 offset:18432
	v_mov_b32_e32 v7, s63
	s_waitcnt lgkmcnt(1)
	v_lshlrev_b64 v[3:4], 3, v[3:4]
	v_add_co_u32_e32 v3, vcc, s62, v3
	v_addc_co_u32_e32 v4, vcc, v7, v4, vcc
	v_lshlrev_b32_e32 v7, 3, v51
	v_add_co_u32_e32 v3, vcc, v3, v7
	v_addc_co_u32_e32 v4, vcc, 0, v4, vcc
	s_waitcnt lgkmcnt(0)
	global_store_dwordx2 v[3:4], v[5:6], off
	s_or_b64 exec, exec, s[0:1]
	s_and_saveexec_b64 s[0:1], s[44:45]
	s_cbranch_execnz .LBB25_205
.LBB25_147:
	s_or_b64 exec, exec, s[0:1]
	s_and_saveexec_b64 s[0:1], s[46:47]
	s_cbranch_execz .LBB25_206
.LBB25_148:
	v_lshlrev_b32_e32 v3, 3, v55
	ds_read_b64 v[3:4], v3
	ds_read_b64 v[5:6], v32 offset:22528
	v_mov_b32_e32 v7, s63
	s_waitcnt lgkmcnt(1)
	v_lshlrev_b64 v[3:4], 3, v[3:4]
	v_add_co_u32_e32 v3, vcc, s62, v3
	v_addc_co_u32_e32 v4, vcc, v7, v4, vcc
	v_lshlrev_b32_e32 v7, 3, v53
	v_add_co_u32_e32 v3, vcc, v3, v7
	v_addc_co_u32_e32 v4, vcc, 0, v4, vcc
	s_waitcnt lgkmcnt(0)
	global_store_dwordx2 v[3:4], v[5:6], off
	s_or_b64 exec, exec, s[0:1]
	s_and_saveexec_b64 s[0:1], s[48:49]
	s_cbranch_execnz .LBB25_207
.LBB25_149:
	s_or_b64 exec, exec, s[0:1]
	s_add_i32 s33, s33, -1
	s_cmp_eq_u32 s6, s33
	s_cbranch_scc0 .LBB25_151
.LBB25_150:
	ds_read_b64 v[3:4], v32
	v_add_co_u32_e32 v5, vcc, v31, v30
	v_addc_co_u32_e64 v6, s[0:1], 0, 0, vcc
	s_waitcnt lgkmcnt(0)
	v_add_co_u32_e32 v3, vcc, v5, v3
	v_addc_co_u32_e32 v4, vcc, v6, v4, vcc
	global_store_dwordx2 v32, v[3:4], s[66:67]
.LBB25_151:
	s_mov_b64 s[0:1], 0
.LBB25_152:
	s_and_b64 vcc, exec, s[0:1]
	s_cbranch_vccz .LBB25_195
; %bb.153:
	s_mov_b32 s55, 0
	s_lshl_b64 s[0:1], s[54:55], 2
	v_mbcnt_hi_u32_b32 v8, -1, v29
	s_add_u32 s0, s56, s0
	v_lshlrev_b32_e32 v4, 2, v8
	v_add_co_u32_e32 v4, vcc, s0, v4
	s_load_dword s8, s[4:5], 0x50
	s_load_dword s0, s[4:5], 0x5c
	s_addc_u32 s1, s57, s1
	v_and_b32_e32 v20, 0xc0, v0
	v_mul_u32_u24_e32 v7, 12, v20
	v_mov_b32_e32 v5, s1
	s_add_u32 s1, s4, 0x50
	v_addc_co_u32_e32 v5, vcc, 0, v5, vcc
	v_lshlrev_b32_e32 v6, 2, v7
	s_addc_u32 s2, s5, 0
	s_waitcnt lgkmcnt(0)
	s_lshr_b32 s3, s0, 16
	v_add_co_u32_e32 v21, vcc, v4, v6
	s_cmp_lt_u32 s6, s8
	v_addc_co_u32_e32 v22, vcc, 0, v5, vcc
	s_cselect_b32 s0, 12, 18
	global_load_dword v5, v[21:22], off
	s_add_u32 s0, s1, s0
	v_mov_b32_e32 v3, 0
	s_addc_u32 s1, s2, 0
	global_load_ushort v23, v3, s[0:1]
	v_mul_u32_u24_e32 v19, 20, v0
	ds_write2_b32 v19, v3, v3 offset0:4 offset1:5
	ds_write2_b32 v19, v3, v3 offset0:6 offset1:7
	ds_write_b32 v19, v3 offset:32
	global_load_dword v18, v[21:22], off offset:256
	global_load_dword v17, v[21:22], off offset:512
	;; [unrolled: 1-line block ×11, first 2 shown]
	s_lshl_b32 s0, -1, s69
	v_mad_u32_u24 v1, v2, s3, v1
	s_not_b32 s9, s0
	s_waitcnt vmcnt(0) lgkmcnt(0)
	s_barrier
	; wave barrier
	v_lshrrev_b32_e32 v2, s68, v5
	v_and_b32_e32 v21, s9, v2
	v_and_b32_e32 v24, 1, v21
	v_lshlrev_b32_e32 v4, 30, v21
	v_mad_u64_u32 v[1:2], s[0:1], v1, v23, v[0:1]
	v_add_co_u32_e32 v2, vcc, -1, v24
	v_addc_co_u32_e64 v23, s[0:1], 0, -1, vcc
	v_cmp_ne_u32_e32 vcc, 0, v24
	v_cmp_gt_i64_e64 s[0:1], 0, v[3:4]
	v_not_b32_e32 v24, v4
	v_lshlrev_b32_e32 v4, 29, v21
	v_xor_b32_e32 v23, vcc_hi, v23
	v_xor_b32_e32 v2, vcc_lo, v2
	v_ashrrev_i32_e32 v24, 31, v24
	v_cmp_gt_i64_e32 vcc, 0, v[3:4]
	v_not_b32_e32 v25, v4
	v_lshlrev_b32_e32 v4, 28, v21
	v_and_b32_e32 v23, exec_hi, v23
	v_and_b32_e32 v2, exec_lo, v2
	v_xor_b32_e32 v26, s1, v24
	v_xor_b32_e32 v24, s0, v24
	v_ashrrev_i32_e32 v25, 31, v25
	v_cmp_gt_i64_e64 s[0:1], 0, v[3:4]
	v_not_b32_e32 v27, v4
	v_lshlrev_b32_e32 v4, 27, v21
	v_and_b32_e32 v23, v23, v26
	v_and_b32_e32 v2, v2, v24
	v_xor_b32_e32 v24, vcc_hi, v25
	v_xor_b32_e32 v25, vcc_lo, v25
	v_ashrrev_i32_e32 v26, 31, v27
	v_cmp_gt_i64_e32 vcc, 0, v[3:4]
	v_not_b32_e32 v4, v4
	v_lshrrev_b32_e32 v1, 4, v1
	v_and_b32_e32 v23, v23, v24
	v_and_b32_e32 v2, v2, v25
	v_xor_b32_e32 v24, s1, v26
	v_xor_b32_e32 v25, s0, v26
	v_ashrrev_i32_e32 v4, 31, v4
	v_and_b32_e32 v28, 0xffffffc, v1
	v_and_b32_e32 v1, v23, v24
	;; [unrolled: 1-line block ×3, first 2 shown]
	v_xor_b32_e32 v23, vcc_hi, v4
	v_xor_b32_e32 v4, vcc_lo, v4
	v_and_b32_e32 v2, v2, v4
	v_lshlrev_b32_e32 v4, 26, v21
	v_cmp_gt_i64_e32 vcc, 0, v[3:4]
	v_not_b32_e32 v4, v4
	v_ashrrev_i32_e32 v4, 31, v4
	v_and_b32_e32 v1, v1, v23
	v_xor_b32_e32 v23, vcc_hi, v4
	v_xor_b32_e32 v4, vcc_lo, v4
	v_and_b32_e32 v2, v2, v4
	v_lshlrev_b32_e32 v4, 25, v21
	v_cmp_gt_i64_e32 vcc, 0, v[3:4]
	v_not_b32_e32 v4, v4
	v_ashrrev_i32_e32 v4, 31, v4
	v_and_b32_e32 v1, v1, v23
	v_xor_b32_e32 v23, vcc_hi, v4
	v_xor_b32_e32 v4, vcc_lo, v4
	v_and_b32_e32 v1, v1, v23
	v_and_b32_e32 v23, v2, v4
	v_lshlrev_b32_e32 v4, 24, v21
	v_cmp_gt_i64_e32 vcc, 0, v[3:4]
	v_not_b32_e32 v2, v4
	v_ashrrev_i32_e32 v2, 31, v2
	v_mul_lo_u32 v22, v21, 20
	v_xor_b32_e32 v4, vcc_hi, v2
	v_xor_b32_e32 v21, vcc_lo, v2
	v_and_b32_e32 v2, v1, v4
	v_and_b32_e32 v1, v23, v21
	v_mbcnt_lo_u32_b32 v4, v1, 0
	v_mbcnt_hi_u32_b32 v21, v2, v4
	v_cmp_ne_u64_e32 vcc, 0, v[1:2]
	v_cmp_eq_u32_e64 s[0:1], 0, v21
	s_and_b64 s[2:3], vcc, s[0:1]
	v_add_u32_e32 v23, v28, v22
	s_and_saveexec_b64 s[0:1], s[2:3]
; %bb.154:
	v_bcnt_u32_b32 v1, v1, 0
	v_bcnt_u32_b32 v1, v2, v1
	ds_write_b32 v23, v1 offset:16
; %bb.155:
	s_or_b64 exec, exec, s[0:1]
	v_lshrrev_b32_e32 v1, s68, v18
	v_and_b32_e32 v1, s9, v1
	v_mul_lo_u32 v2, v1, 20
	v_and_b32_e32 v4, 1, v1
	; wave barrier
	v_add_u32_e32 v24, v28, v2
	v_add_co_u32_e32 v2, vcc, -1, v4
	v_addc_co_u32_e64 v25, s[0:1], 0, -1, vcc
	v_cmp_ne_u32_e32 vcc, 0, v4
	v_xor_b32_e32 v4, vcc_hi, v25
	v_and_b32_e32 v25, exec_hi, v4
	v_lshlrev_b32_e32 v4, 30, v1
	v_xor_b32_e32 v2, vcc_lo, v2
	v_cmp_gt_i64_e32 vcc, 0, v[3:4]
	v_not_b32_e32 v4, v4
	v_ashrrev_i32_e32 v4, 31, v4
	v_and_b32_e32 v2, exec_lo, v2
	v_xor_b32_e32 v26, vcc_hi, v4
	v_xor_b32_e32 v4, vcc_lo, v4
	v_and_b32_e32 v2, v2, v4
	v_lshlrev_b32_e32 v4, 29, v1
	v_cmp_gt_i64_e32 vcc, 0, v[3:4]
	v_not_b32_e32 v4, v4
	v_ashrrev_i32_e32 v4, 31, v4
	v_and_b32_e32 v25, v25, v26
	v_xor_b32_e32 v26, vcc_hi, v4
	v_xor_b32_e32 v4, vcc_lo, v4
	v_and_b32_e32 v2, v2, v4
	v_lshlrev_b32_e32 v4, 28, v1
	v_cmp_gt_i64_e32 vcc, 0, v[3:4]
	v_not_b32_e32 v4, v4
	v_ashrrev_i32_e32 v4, 31, v4
	v_and_b32_e32 v25, v25, v26
	;; [unrolled: 8-line block ×5, first 2 shown]
	v_xor_b32_e32 v26, vcc_hi, v4
	v_xor_b32_e32 v4, vcc_lo, v4
	v_and_b32_e32 v25, v25, v26
	v_and_b32_e32 v26, v2, v4
	v_lshlrev_b32_e32 v4, 24, v1
	v_cmp_gt_i64_e32 vcc, 0, v[3:4]
	v_not_b32_e32 v1, v4
	v_ashrrev_i32_e32 v1, 31, v1
	v_xor_b32_e32 v2, vcc_hi, v1
	v_xor_b32_e32 v1, vcc_lo, v1
	ds_read_b32 v22, v24 offset:16
	v_and_b32_e32 v1, v26, v1
	v_and_b32_e32 v2, v25, v2
	v_mbcnt_lo_u32_b32 v3, v1, 0
	v_mbcnt_hi_u32_b32 v25, v2, v3
	v_cmp_ne_u64_e32 vcc, 0, v[1:2]
	v_cmp_eq_u32_e64 s[0:1], 0, v25
	s_and_b64 s[2:3], vcc, s[0:1]
	; wave barrier
	s_and_saveexec_b64 s[0:1], s[2:3]
	s_cbranch_execz .LBB25_157
; %bb.156:
	v_bcnt_u32_b32 v1, v1, 0
	v_bcnt_u32_b32 v1, v2, v1
	s_waitcnt lgkmcnt(0)
	v_add_u32_e32 v1, v22, v1
	ds_write_b32 v24, v1 offset:16
.LBB25_157:
	s_or_b64 exec, exec, s[0:1]
	v_lshrrev_b32_e32 v1, s68, v17
	v_and_b32_e32 v3, s9, v1
	v_mul_lo_u32 v1, v3, 20
	v_and_b32_e32 v2, 1, v3
	v_add_co_u32_e32 v4, vcc, -1, v2
	v_addc_co_u32_e64 v29, s[0:1], 0, -1, vcc
	v_cmp_ne_u32_e32 vcc, 0, v2
	v_xor_b32_e32 v2, vcc_hi, v29
	v_add_u32_e32 v27, v28, v1
	v_mov_b32_e32 v1, 0
	v_and_b32_e32 v29, exec_hi, v2
	v_lshlrev_b32_e32 v2, 30, v3
	v_xor_b32_e32 v4, vcc_lo, v4
	v_cmp_gt_i64_e32 vcc, 0, v[1:2]
	v_not_b32_e32 v2, v2
	v_ashrrev_i32_e32 v2, 31, v2
	v_and_b32_e32 v4, exec_lo, v4
	v_xor_b32_e32 v30, vcc_hi, v2
	v_xor_b32_e32 v2, vcc_lo, v2
	v_and_b32_e32 v4, v4, v2
	v_lshlrev_b32_e32 v2, 29, v3
	v_cmp_gt_i64_e32 vcc, 0, v[1:2]
	v_not_b32_e32 v2, v2
	v_ashrrev_i32_e32 v2, 31, v2
	v_and_b32_e32 v29, v29, v30
	v_xor_b32_e32 v30, vcc_hi, v2
	v_xor_b32_e32 v2, vcc_lo, v2
	v_and_b32_e32 v4, v4, v2
	v_lshlrev_b32_e32 v2, 28, v3
	v_cmp_gt_i64_e32 vcc, 0, v[1:2]
	v_not_b32_e32 v2, v2
	v_ashrrev_i32_e32 v2, 31, v2
	v_and_b32_e32 v29, v29, v30
	;; [unrolled: 8-line block ×5, first 2 shown]
	v_xor_b32_e32 v30, vcc_hi, v2
	v_xor_b32_e32 v2, vcc_lo, v2
	v_and_b32_e32 v4, v4, v2
	v_lshlrev_b32_e32 v2, 24, v3
	v_cmp_gt_i64_e32 vcc, 0, v[1:2]
	v_not_b32_e32 v2, v2
	v_ashrrev_i32_e32 v2, 31, v2
	v_xor_b32_e32 v3, vcc_hi, v2
	v_xor_b32_e32 v2, vcc_lo, v2
	; wave barrier
	ds_read_b32 v26, v27 offset:16
	v_and_b32_e32 v29, v29, v30
	v_and_b32_e32 v2, v4, v2
	;; [unrolled: 1-line block ×3, first 2 shown]
	v_mbcnt_lo_u32_b32 v4, v2, 0
	v_mbcnt_hi_u32_b32 v29, v3, v4
	v_cmp_ne_u64_e32 vcc, 0, v[2:3]
	v_cmp_eq_u32_e64 s[0:1], 0, v29
	s_and_b64 s[2:3], vcc, s[0:1]
	; wave barrier
	s_and_saveexec_b64 s[0:1], s[2:3]
	s_cbranch_execz .LBB25_159
; %bb.158:
	v_bcnt_u32_b32 v2, v2, 0
	v_bcnt_u32_b32 v2, v3, v2
	s_waitcnt lgkmcnt(0)
	v_add_u32_e32 v2, v26, v2
	ds_write_b32 v27, v2 offset:16
.LBB25_159:
	s_or_b64 exec, exec, s[0:1]
	v_lshrrev_b32_e32 v2, s68, v16
	v_and_b32_e32 v3, s9, v2
	v_mul_lo_u32 v2, v3, 20
	v_and_b32_e32 v4, 1, v3
	; wave barrier
	v_add_u32_e32 v31, v28, v2
	v_add_co_u32_e32 v2, vcc, -1, v4
	v_addc_co_u32_e64 v32, s[0:1], 0, -1, vcc
	v_cmp_ne_u32_e32 vcc, 0, v4
	v_xor_b32_e32 v2, vcc_lo, v2
	v_xor_b32_e32 v4, vcc_hi, v32
	v_and_b32_e32 v32, exec_lo, v2
	v_lshlrev_b32_e32 v2, 30, v3
	v_cmp_gt_i64_e32 vcc, 0, v[1:2]
	v_not_b32_e32 v2, v2
	v_ashrrev_i32_e32 v2, 31, v2
	v_xor_b32_e32 v33, vcc_hi, v2
	v_xor_b32_e32 v2, vcc_lo, v2
	v_and_b32_e32 v32, v32, v2
	v_lshlrev_b32_e32 v2, 29, v3
	v_cmp_gt_i64_e32 vcc, 0, v[1:2]
	v_not_b32_e32 v2, v2
	v_and_b32_e32 v4, exec_hi, v4
	v_ashrrev_i32_e32 v2, 31, v2
	v_and_b32_e32 v4, v4, v33
	v_xor_b32_e32 v33, vcc_hi, v2
	v_xor_b32_e32 v2, vcc_lo, v2
	v_and_b32_e32 v32, v32, v2
	v_lshlrev_b32_e32 v2, 28, v3
	v_cmp_gt_i64_e32 vcc, 0, v[1:2]
	v_not_b32_e32 v2, v2
	v_ashrrev_i32_e32 v2, 31, v2
	v_and_b32_e32 v4, v4, v33
	v_xor_b32_e32 v33, vcc_hi, v2
	v_xor_b32_e32 v2, vcc_lo, v2
	v_and_b32_e32 v32, v32, v2
	v_lshlrev_b32_e32 v2, 27, v3
	v_cmp_gt_i64_e32 vcc, 0, v[1:2]
	v_not_b32_e32 v2, v2
	;; [unrolled: 8-line block ×5, first 2 shown]
	v_ashrrev_i32_e32 v1, 31, v1
	v_xor_b32_e32 v2, vcc_hi, v1
	v_xor_b32_e32 v1, vcc_lo, v1
	ds_read_b32 v30, v31 offset:16
	v_and_b32_e32 v4, v4, v33
	v_and_b32_e32 v1, v32, v1
	;; [unrolled: 1-line block ×3, first 2 shown]
	v_mbcnt_lo_u32_b32 v3, v1, 0
	v_mbcnt_hi_u32_b32 v32, v2, v3
	v_cmp_ne_u64_e32 vcc, 0, v[1:2]
	v_cmp_eq_u32_e64 s[0:1], 0, v32
	s_and_b64 s[2:3], vcc, s[0:1]
	; wave barrier
	s_and_saveexec_b64 s[0:1], s[2:3]
	s_cbranch_execz .LBB25_161
; %bb.160:
	v_bcnt_u32_b32 v1, v1, 0
	v_bcnt_u32_b32 v1, v2, v1
	s_waitcnt lgkmcnt(0)
	v_add_u32_e32 v1, v30, v1
	ds_write_b32 v31, v1 offset:16
.LBB25_161:
	s_or_b64 exec, exec, s[0:1]
	v_lshrrev_b32_e32 v1, s68, v15
	v_and_b32_e32 v3, s9, v1
	v_mul_lo_u32 v1, v3, 20
	v_and_b32_e32 v2, 1, v3
	v_add_co_u32_e32 v4, vcc, -1, v2
	v_addc_co_u32_e64 v35, s[0:1], 0, -1, vcc
	v_cmp_ne_u32_e32 vcc, 0, v2
	v_xor_b32_e32 v2, vcc_hi, v35
	v_add_u32_e32 v34, v28, v1
	v_mov_b32_e32 v1, 0
	v_and_b32_e32 v35, exec_hi, v2
	v_lshlrev_b32_e32 v2, 30, v3
	v_xor_b32_e32 v4, vcc_lo, v4
	v_cmp_gt_i64_e32 vcc, 0, v[1:2]
	v_not_b32_e32 v2, v2
	v_ashrrev_i32_e32 v2, 31, v2
	v_and_b32_e32 v4, exec_lo, v4
	v_xor_b32_e32 v36, vcc_hi, v2
	v_xor_b32_e32 v2, vcc_lo, v2
	v_and_b32_e32 v4, v4, v2
	v_lshlrev_b32_e32 v2, 29, v3
	v_cmp_gt_i64_e32 vcc, 0, v[1:2]
	v_not_b32_e32 v2, v2
	v_ashrrev_i32_e32 v2, 31, v2
	v_and_b32_e32 v35, v35, v36
	v_xor_b32_e32 v36, vcc_hi, v2
	v_xor_b32_e32 v2, vcc_lo, v2
	v_and_b32_e32 v4, v4, v2
	v_lshlrev_b32_e32 v2, 28, v3
	v_cmp_gt_i64_e32 vcc, 0, v[1:2]
	v_not_b32_e32 v2, v2
	v_ashrrev_i32_e32 v2, 31, v2
	v_and_b32_e32 v35, v35, v36
	;; [unrolled: 8-line block ×5, first 2 shown]
	v_xor_b32_e32 v36, vcc_hi, v2
	v_xor_b32_e32 v2, vcc_lo, v2
	v_and_b32_e32 v4, v4, v2
	v_lshlrev_b32_e32 v2, 24, v3
	v_cmp_gt_i64_e32 vcc, 0, v[1:2]
	v_not_b32_e32 v2, v2
	v_ashrrev_i32_e32 v2, 31, v2
	v_xor_b32_e32 v3, vcc_hi, v2
	v_xor_b32_e32 v2, vcc_lo, v2
	; wave barrier
	ds_read_b32 v33, v34 offset:16
	v_and_b32_e32 v35, v35, v36
	v_and_b32_e32 v2, v4, v2
	;; [unrolled: 1-line block ×3, first 2 shown]
	v_mbcnt_lo_u32_b32 v4, v2, 0
	v_mbcnt_hi_u32_b32 v35, v3, v4
	v_cmp_ne_u64_e32 vcc, 0, v[2:3]
	v_cmp_eq_u32_e64 s[0:1], 0, v35
	s_and_b64 s[2:3], vcc, s[0:1]
	; wave barrier
	s_and_saveexec_b64 s[0:1], s[2:3]
	s_cbranch_execz .LBB25_163
; %bb.162:
	v_bcnt_u32_b32 v2, v2, 0
	v_bcnt_u32_b32 v2, v3, v2
	s_waitcnt lgkmcnt(0)
	v_add_u32_e32 v2, v33, v2
	ds_write_b32 v34, v2 offset:16
.LBB25_163:
	s_or_b64 exec, exec, s[0:1]
	v_lshrrev_b32_e32 v2, s68, v14
	v_and_b32_e32 v3, s9, v2
	v_mul_lo_u32 v2, v3, 20
	v_and_b32_e32 v4, 1, v3
	; wave barrier
	v_add_u32_e32 v37, v28, v2
	v_add_co_u32_e32 v2, vcc, -1, v4
	v_addc_co_u32_e64 v38, s[0:1], 0, -1, vcc
	v_cmp_ne_u32_e32 vcc, 0, v4
	v_xor_b32_e32 v2, vcc_lo, v2
	v_xor_b32_e32 v4, vcc_hi, v38
	v_and_b32_e32 v38, exec_lo, v2
	v_lshlrev_b32_e32 v2, 30, v3
	v_cmp_gt_i64_e32 vcc, 0, v[1:2]
	v_not_b32_e32 v2, v2
	v_ashrrev_i32_e32 v2, 31, v2
	v_xor_b32_e32 v39, vcc_hi, v2
	v_xor_b32_e32 v2, vcc_lo, v2
	v_and_b32_e32 v38, v38, v2
	v_lshlrev_b32_e32 v2, 29, v3
	v_cmp_gt_i64_e32 vcc, 0, v[1:2]
	v_not_b32_e32 v2, v2
	v_and_b32_e32 v4, exec_hi, v4
	v_ashrrev_i32_e32 v2, 31, v2
	v_and_b32_e32 v4, v4, v39
	v_xor_b32_e32 v39, vcc_hi, v2
	v_xor_b32_e32 v2, vcc_lo, v2
	v_and_b32_e32 v38, v38, v2
	v_lshlrev_b32_e32 v2, 28, v3
	v_cmp_gt_i64_e32 vcc, 0, v[1:2]
	v_not_b32_e32 v2, v2
	v_ashrrev_i32_e32 v2, 31, v2
	v_and_b32_e32 v4, v4, v39
	v_xor_b32_e32 v39, vcc_hi, v2
	v_xor_b32_e32 v2, vcc_lo, v2
	v_and_b32_e32 v38, v38, v2
	v_lshlrev_b32_e32 v2, 27, v3
	v_cmp_gt_i64_e32 vcc, 0, v[1:2]
	v_not_b32_e32 v2, v2
	v_ashrrev_i32_e32 v2, 31, v2
	v_and_b32_e32 v4, v4, v39
	v_xor_b32_e32 v39, vcc_hi, v2
	v_xor_b32_e32 v2, vcc_lo, v2
	v_and_b32_e32 v38, v38, v2
	v_lshlrev_b32_e32 v2, 26, v3
	v_cmp_gt_i64_e32 vcc, 0, v[1:2]
	v_not_b32_e32 v2, v2
	v_ashrrev_i32_e32 v2, 31, v2
	v_and_b32_e32 v4, v4, v39
	v_xor_b32_e32 v39, vcc_hi, v2
	v_xor_b32_e32 v2, vcc_lo, v2
	v_and_b32_e32 v38, v38, v2
	v_lshlrev_b32_e32 v2, 25, v3
	v_cmp_gt_i64_e32 vcc, 0, v[1:2]
	v_not_b32_e32 v2, v2
	v_ashrrev_i32_e32 v2, 31, v2
	v_and_b32_e32 v4, v4, v39
	v_xor_b32_e32 v39, vcc_hi, v2
	v_xor_b32_e32 v2, vcc_lo, v2
	v_and_b32_e32 v38, v38, v2
	v_lshlrev_b32_e32 v2, 24, v3
	v_cmp_gt_i64_e32 vcc, 0, v[1:2]
	v_not_b32_e32 v1, v2
	v_ashrrev_i32_e32 v1, 31, v1
	v_xor_b32_e32 v2, vcc_hi, v1
	v_xor_b32_e32 v1, vcc_lo, v1
	ds_read_b32 v36, v37 offset:16
	v_and_b32_e32 v4, v4, v39
	v_and_b32_e32 v1, v38, v1
	;; [unrolled: 1-line block ×3, first 2 shown]
	v_mbcnt_lo_u32_b32 v3, v1, 0
	v_mbcnt_hi_u32_b32 v38, v2, v3
	v_cmp_ne_u64_e32 vcc, 0, v[1:2]
	v_cmp_eq_u32_e64 s[0:1], 0, v38
	s_and_b64 s[2:3], vcc, s[0:1]
	; wave barrier
	s_and_saveexec_b64 s[0:1], s[2:3]
	s_cbranch_execz .LBB25_165
; %bb.164:
	v_bcnt_u32_b32 v1, v1, 0
	v_bcnt_u32_b32 v1, v2, v1
	s_waitcnt lgkmcnt(0)
	v_add_u32_e32 v1, v36, v1
	ds_write_b32 v37, v1 offset:16
.LBB25_165:
	s_or_b64 exec, exec, s[0:1]
	v_lshrrev_b32_e32 v1, s68, v13
	v_and_b32_e32 v3, s9, v1
	v_mul_lo_u32 v1, v3, 20
	v_and_b32_e32 v2, 1, v3
	v_add_co_u32_e32 v4, vcc, -1, v2
	v_addc_co_u32_e64 v41, s[0:1], 0, -1, vcc
	v_cmp_ne_u32_e32 vcc, 0, v2
	v_xor_b32_e32 v2, vcc_hi, v41
	v_add_u32_e32 v40, v28, v1
	v_mov_b32_e32 v1, 0
	v_and_b32_e32 v41, exec_hi, v2
	v_lshlrev_b32_e32 v2, 30, v3
	v_xor_b32_e32 v4, vcc_lo, v4
	v_cmp_gt_i64_e32 vcc, 0, v[1:2]
	v_not_b32_e32 v2, v2
	v_ashrrev_i32_e32 v2, 31, v2
	v_and_b32_e32 v4, exec_lo, v4
	v_xor_b32_e32 v42, vcc_hi, v2
	v_xor_b32_e32 v2, vcc_lo, v2
	v_and_b32_e32 v4, v4, v2
	v_lshlrev_b32_e32 v2, 29, v3
	v_cmp_gt_i64_e32 vcc, 0, v[1:2]
	v_not_b32_e32 v2, v2
	v_ashrrev_i32_e32 v2, 31, v2
	v_and_b32_e32 v41, v41, v42
	v_xor_b32_e32 v42, vcc_hi, v2
	v_xor_b32_e32 v2, vcc_lo, v2
	v_and_b32_e32 v4, v4, v2
	v_lshlrev_b32_e32 v2, 28, v3
	v_cmp_gt_i64_e32 vcc, 0, v[1:2]
	v_not_b32_e32 v2, v2
	v_ashrrev_i32_e32 v2, 31, v2
	v_and_b32_e32 v41, v41, v42
	;; [unrolled: 8-line block ×5, first 2 shown]
	v_xor_b32_e32 v42, vcc_hi, v2
	v_xor_b32_e32 v2, vcc_lo, v2
	v_and_b32_e32 v4, v4, v2
	v_lshlrev_b32_e32 v2, 24, v3
	v_cmp_gt_i64_e32 vcc, 0, v[1:2]
	v_not_b32_e32 v2, v2
	v_ashrrev_i32_e32 v2, 31, v2
	v_xor_b32_e32 v3, vcc_hi, v2
	v_xor_b32_e32 v2, vcc_lo, v2
	; wave barrier
	ds_read_b32 v39, v40 offset:16
	v_and_b32_e32 v41, v41, v42
	v_and_b32_e32 v2, v4, v2
	;; [unrolled: 1-line block ×3, first 2 shown]
	v_mbcnt_lo_u32_b32 v4, v2, 0
	v_mbcnt_hi_u32_b32 v41, v3, v4
	v_cmp_ne_u64_e32 vcc, 0, v[2:3]
	v_cmp_eq_u32_e64 s[0:1], 0, v41
	s_and_b64 s[2:3], vcc, s[0:1]
	; wave barrier
	s_and_saveexec_b64 s[0:1], s[2:3]
	s_cbranch_execz .LBB25_167
; %bb.166:
	v_bcnt_u32_b32 v2, v2, 0
	v_bcnt_u32_b32 v2, v3, v2
	s_waitcnt lgkmcnt(0)
	v_add_u32_e32 v2, v39, v2
	ds_write_b32 v40, v2 offset:16
.LBB25_167:
	s_or_b64 exec, exec, s[0:1]
	v_lshrrev_b32_e32 v2, s68, v12
	v_and_b32_e32 v3, s9, v2
	v_mul_lo_u32 v2, v3, 20
	v_and_b32_e32 v4, 1, v3
	; wave barrier
	v_add_u32_e32 v43, v28, v2
	v_add_co_u32_e32 v2, vcc, -1, v4
	v_addc_co_u32_e64 v44, s[0:1], 0, -1, vcc
	v_cmp_ne_u32_e32 vcc, 0, v4
	v_xor_b32_e32 v2, vcc_lo, v2
	v_xor_b32_e32 v4, vcc_hi, v44
	v_and_b32_e32 v44, exec_lo, v2
	v_lshlrev_b32_e32 v2, 30, v3
	v_cmp_gt_i64_e32 vcc, 0, v[1:2]
	v_not_b32_e32 v2, v2
	v_ashrrev_i32_e32 v2, 31, v2
	v_xor_b32_e32 v45, vcc_hi, v2
	v_xor_b32_e32 v2, vcc_lo, v2
	v_and_b32_e32 v44, v44, v2
	v_lshlrev_b32_e32 v2, 29, v3
	v_cmp_gt_i64_e32 vcc, 0, v[1:2]
	v_not_b32_e32 v2, v2
	v_and_b32_e32 v4, exec_hi, v4
	v_ashrrev_i32_e32 v2, 31, v2
	v_and_b32_e32 v4, v4, v45
	v_xor_b32_e32 v45, vcc_hi, v2
	v_xor_b32_e32 v2, vcc_lo, v2
	v_and_b32_e32 v44, v44, v2
	v_lshlrev_b32_e32 v2, 28, v3
	v_cmp_gt_i64_e32 vcc, 0, v[1:2]
	v_not_b32_e32 v2, v2
	v_ashrrev_i32_e32 v2, 31, v2
	v_and_b32_e32 v4, v4, v45
	v_xor_b32_e32 v45, vcc_hi, v2
	v_xor_b32_e32 v2, vcc_lo, v2
	v_and_b32_e32 v44, v44, v2
	v_lshlrev_b32_e32 v2, 27, v3
	v_cmp_gt_i64_e32 vcc, 0, v[1:2]
	v_not_b32_e32 v2, v2
	;; [unrolled: 8-line block ×5, first 2 shown]
	v_ashrrev_i32_e32 v1, 31, v1
	v_xor_b32_e32 v2, vcc_hi, v1
	v_xor_b32_e32 v1, vcc_lo, v1
	ds_read_b32 v42, v43 offset:16
	v_and_b32_e32 v4, v4, v45
	v_and_b32_e32 v1, v44, v1
	;; [unrolled: 1-line block ×3, first 2 shown]
	v_mbcnt_lo_u32_b32 v3, v1, 0
	v_mbcnt_hi_u32_b32 v44, v2, v3
	v_cmp_ne_u64_e32 vcc, 0, v[1:2]
	v_cmp_eq_u32_e64 s[0:1], 0, v44
	s_and_b64 s[2:3], vcc, s[0:1]
	; wave barrier
	s_and_saveexec_b64 s[0:1], s[2:3]
	s_cbranch_execz .LBB25_169
; %bb.168:
	v_bcnt_u32_b32 v1, v1, 0
	v_bcnt_u32_b32 v1, v2, v1
	s_waitcnt lgkmcnt(0)
	v_add_u32_e32 v1, v42, v1
	ds_write_b32 v43, v1 offset:16
.LBB25_169:
	s_or_b64 exec, exec, s[0:1]
	v_lshrrev_b32_e32 v1, s68, v11
	v_and_b32_e32 v3, s9, v1
	v_mul_lo_u32 v1, v3, 20
	v_and_b32_e32 v2, 1, v3
	v_add_co_u32_e32 v4, vcc, -1, v2
	v_addc_co_u32_e64 v47, s[0:1], 0, -1, vcc
	v_cmp_ne_u32_e32 vcc, 0, v2
	v_xor_b32_e32 v2, vcc_hi, v47
	v_add_u32_e32 v46, v28, v1
	v_mov_b32_e32 v1, 0
	v_and_b32_e32 v47, exec_hi, v2
	v_lshlrev_b32_e32 v2, 30, v3
	v_xor_b32_e32 v4, vcc_lo, v4
	v_cmp_gt_i64_e32 vcc, 0, v[1:2]
	v_not_b32_e32 v2, v2
	v_ashrrev_i32_e32 v2, 31, v2
	v_and_b32_e32 v4, exec_lo, v4
	v_xor_b32_e32 v48, vcc_hi, v2
	v_xor_b32_e32 v2, vcc_lo, v2
	v_and_b32_e32 v4, v4, v2
	v_lshlrev_b32_e32 v2, 29, v3
	v_cmp_gt_i64_e32 vcc, 0, v[1:2]
	v_not_b32_e32 v2, v2
	v_ashrrev_i32_e32 v2, 31, v2
	v_and_b32_e32 v47, v47, v48
	v_xor_b32_e32 v48, vcc_hi, v2
	v_xor_b32_e32 v2, vcc_lo, v2
	v_and_b32_e32 v4, v4, v2
	v_lshlrev_b32_e32 v2, 28, v3
	v_cmp_gt_i64_e32 vcc, 0, v[1:2]
	v_not_b32_e32 v2, v2
	v_ashrrev_i32_e32 v2, 31, v2
	v_and_b32_e32 v47, v47, v48
	;; [unrolled: 8-line block ×5, first 2 shown]
	v_xor_b32_e32 v48, vcc_hi, v2
	v_xor_b32_e32 v2, vcc_lo, v2
	v_and_b32_e32 v4, v4, v2
	v_lshlrev_b32_e32 v2, 24, v3
	v_cmp_gt_i64_e32 vcc, 0, v[1:2]
	v_not_b32_e32 v2, v2
	v_ashrrev_i32_e32 v2, 31, v2
	v_xor_b32_e32 v3, vcc_hi, v2
	v_xor_b32_e32 v2, vcc_lo, v2
	; wave barrier
	ds_read_b32 v45, v46 offset:16
	v_and_b32_e32 v47, v47, v48
	v_and_b32_e32 v2, v4, v2
	;; [unrolled: 1-line block ×3, first 2 shown]
	v_mbcnt_lo_u32_b32 v4, v2, 0
	v_mbcnt_hi_u32_b32 v47, v3, v4
	v_cmp_ne_u64_e32 vcc, 0, v[2:3]
	v_cmp_eq_u32_e64 s[0:1], 0, v47
	s_and_b64 s[2:3], vcc, s[0:1]
	; wave barrier
	s_and_saveexec_b64 s[0:1], s[2:3]
	s_cbranch_execz .LBB25_171
; %bb.170:
	v_bcnt_u32_b32 v2, v2, 0
	v_bcnt_u32_b32 v2, v3, v2
	s_waitcnt lgkmcnt(0)
	v_add_u32_e32 v2, v45, v2
	ds_write_b32 v46, v2 offset:16
.LBB25_171:
	s_or_b64 exec, exec, s[0:1]
	v_lshrrev_b32_e32 v2, s68, v10
	v_and_b32_e32 v3, s9, v2
	v_mul_lo_u32 v2, v3, 20
	v_and_b32_e32 v4, 1, v3
	; wave barrier
	v_add_u32_e32 v49, v28, v2
	v_add_co_u32_e32 v2, vcc, -1, v4
	v_addc_co_u32_e64 v50, s[0:1], 0, -1, vcc
	v_cmp_ne_u32_e32 vcc, 0, v4
	v_xor_b32_e32 v2, vcc_lo, v2
	v_xor_b32_e32 v4, vcc_hi, v50
	v_and_b32_e32 v50, exec_lo, v2
	v_lshlrev_b32_e32 v2, 30, v3
	v_cmp_gt_i64_e32 vcc, 0, v[1:2]
	v_not_b32_e32 v2, v2
	v_ashrrev_i32_e32 v2, 31, v2
	v_xor_b32_e32 v51, vcc_hi, v2
	v_xor_b32_e32 v2, vcc_lo, v2
	v_and_b32_e32 v50, v50, v2
	v_lshlrev_b32_e32 v2, 29, v3
	v_cmp_gt_i64_e32 vcc, 0, v[1:2]
	v_not_b32_e32 v2, v2
	v_and_b32_e32 v4, exec_hi, v4
	v_ashrrev_i32_e32 v2, 31, v2
	v_and_b32_e32 v4, v4, v51
	v_xor_b32_e32 v51, vcc_hi, v2
	v_xor_b32_e32 v2, vcc_lo, v2
	v_and_b32_e32 v50, v50, v2
	v_lshlrev_b32_e32 v2, 28, v3
	v_cmp_gt_i64_e32 vcc, 0, v[1:2]
	v_not_b32_e32 v2, v2
	v_ashrrev_i32_e32 v2, 31, v2
	v_and_b32_e32 v4, v4, v51
	v_xor_b32_e32 v51, vcc_hi, v2
	v_xor_b32_e32 v2, vcc_lo, v2
	v_and_b32_e32 v50, v50, v2
	v_lshlrev_b32_e32 v2, 27, v3
	v_cmp_gt_i64_e32 vcc, 0, v[1:2]
	v_not_b32_e32 v2, v2
	;; [unrolled: 8-line block ×5, first 2 shown]
	v_ashrrev_i32_e32 v1, 31, v1
	v_xor_b32_e32 v2, vcc_hi, v1
	v_xor_b32_e32 v1, vcc_lo, v1
	ds_read_b32 v48, v49 offset:16
	v_and_b32_e32 v4, v4, v51
	v_and_b32_e32 v1, v50, v1
	;; [unrolled: 1-line block ×3, first 2 shown]
	v_mbcnt_lo_u32_b32 v3, v1, 0
	v_mbcnt_hi_u32_b32 v51, v2, v3
	v_cmp_ne_u64_e32 vcc, 0, v[1:2]
	v_cmp_eq_u32_e64 s[0:1], 0, v51
	s_and_b64 s[2:3], vcc, s[0:1]
	; wave barrier
	s_and_saveexec_b64 s[0:1], s[2:3]
	s_cbranch_execz .LBB25_173
; %bb.172:
	v_bcnt_u32_b32 v1, v1, 0
	v_bcnt_u32_b32 v1, v2, v1
	s_waitcnt lgkmcnt(0)
	v_add_u32_e32 v1, v48, v1
	ds_write_b32 v49, v1 offset:16
.LBB25_173:
	s_or_b64 exec, exec, s[0:1]
	v_lshrrev_b32_e32 v1, s68, v9
	v_and_b32_e32 v3, s9, v1
	v_mul_lo_u32 v1, v3, 20
	v_and_b32_e32 v2, 1, v3
	v_add_co_u32_e32 v4, vcc, -1, v2
	v_addc_co_u32_e64 v50, s[0:1], 0, -1, vcc
	v_cmp_ne_u32_e32 vcc, 0, v2
	v_xor_b32_e32 v2, vcc_hi, v50
	v_add_u32_e32 v53, v28, v1
	v_mov_b32_e32 v1, 0
	v_and_b32_e32 v50, exec_hi, v2
	v_lshlrev_b32_e32 v2, 30, v3
	v_xor_b32_e32 v4, vcc_lo, v4
	v_cmp_gt_i64_e32 vcc, 0, v[1:2]
	v_not_b32_e32 v2, v2
	v_ashrrev_i32_e32 v2, 31, v2
	v_and_b32_e32 v4, exec_lo, v4
	v_xor_b32_e32 v54, vcc_hi, v2
	v_xor_b32_e32 v2, vcc_lo, v2
	v_and_b32_e32 v4, v4, v2
	v_lshlrev_b32_e32 v2, 29, v3
	v_cmp_gt_i64_e32 vcc, 0, v[1:2]
	v_not_b32_e32 v2, v2
	v_ashrrev_i32_e32 v2, 31, v2
	v_and_b32_e32 v50, v50, v54
	v_xor_b32_e32 v54, vcc_hi, v2
	v_xor_b32_e32 v2, vcc_lo, v2
	v_and_b32_e32 v4, v4, v2
	v_lshlrev_b32_e32 v2, 28, v3
	v_cmp_gt_i64_e32 vcc, 0, v[1:2]
	v_not_b32_e32 v2, v2
	v_ashrrev_i32_e32 v2, 31, v2
	v_and_b32_e32 v50, v50, v54
	;; [unrolled: 8-line block ×5, first 2 shown]
	v_xor_b32_e32 v54, vcc_hi, v2
	v_xor_b32_e32 v2, vcc_lo, v2
	v_and_b32_e32 v4, v4, v2
	v_lshlrev_b32_e32 v2, 24, v3
	v_cmp_gt_i64_e32 vcc, 0, v[1:2]
	v_not_b32_e32 v2, v2
	v_ashrrev_i32_e32 v2, 31, v2
	v_xor_b32_e32 v3, vcc_hi, v2
	v_xor_b32_e32 v2, vcc_lo, v2
	; wave barrier
	ds_read_b32 v52, v53 offset:16
	v_and_b32_e32 v50, v50, v54
	v_and_b32_e32 v2, v4, v2
	;; [unrolled: 1-line block ×3, first 2 shown]
	v_mbcnt_lo_u32_b32 v4, v2, 0
	v_mbcnt_hi_u32_b32 v54, v3, v4
	v_cmp_ne_u64_e32 vcc, 0, v[2:3]
	v_cmp_eq_u32_e64 s[0:1], 0, v54
	s_and_b64 s[2:3], vcc, s[0:1]
	; wave barrier
	s_and_saveexec_b64 s[0:1], s[2:3]
	s_cbranch_execz .LBB25_175
; %bb.174:
	v_bcnt_u32_b32 v2, v2, 0
	v_bcnt_u32_b32 v2, v3, v2
	s_waitcnt lgkmcnt(0)
	v_add_u32_e32 v2, v52, v2
	ds_write_b32 v53, v2 offset:16
.LBB25_175:
	s_or_b64 exec, exec, s[0:1]
	v_lshrrev_b32_e32 v2, s68, v6
	v_and_b32_e32 v3, s9, v2
	v_mul_lo_u32 v2, v3, 20
	v_and_b32_e32 v4, 1, v3
	; wave barrier
	v_add_u32_e32 v28, v28, v2
	v_add_co_u32_e32 v2, vcc, -1, v4
	v_addc_co_u32_e64 v50, s[0:1], 0, -1, vcc
	v_cmp_ne_u32_e32 vcc, 0, v4
	v_xor_b32_e32 v2, vcc_lo, v2
	v_xor_b32_e32 v4, vcc_hi, v50
	v_and_b32_e32 v50, exec_lo, v2
	v_lshlrev_b32_e32 v2, 30, v3
	v_cmp_gt_i64_e32 vcc, 0, v[1:2]
	v_not_b32_e32 v2, v2
	v_ashrrev_i32_e32 v2, 31, v2
	v_xor_b32_e32 v56, vcc_hi, v2
	v_xor_b32_e32 v2, vcc_lo, v2
	v_and_b32_e32 v50, v50, v2
	v_lshlrev_b32_e32 v2, 29, v3
	v_cmp_gt_i64_e32 vcc, 0, v[1:2]
	v_not_b32_e32 v2, v2
	v_and_b32_e32 v4, exec_hi, v4
	v_ashrrev_i32_e32 v2, 31, v2
	v_and_b32_e32 v4, v4, v56
	v_xor_b32_e32 v56, vcc_hi, v2
	v_xor_b32_e32 v2, vcc_lo, v2
	v_and_b32_e32 v50, v50, v2
	v_lshlrev_b32_e32 v2, 28, v3
	v_cmp_gt_i64_e32 vcc, 0, v[1:2]
	v_not_b32_e32 v2, v2
	v_ashrrev_i32_e32 v2, 31, v2
	v_and_b32_e32 v4, v4, v56
	v_xor_b32_e32 v56, vcc_hi, v2
	v_xor_b32_e32 v2, vcc_lo, v2
	v_and_b32_e32 v50, v50, v2
	v_lshlrev_b32_e32 v2, 27, v3
	v_cmp_gt_i64_e32 vcc, 0, v[1:2]
	v_not_b32_e32 v2, v2
	;; [unrolled: 8-line block ×5, first 2 shown]
	v_ashrrev_i32_e32 v1, 31, v1
	v_xor_b32_e32 v2, vcc_hi, v1
	v_xor_b32_e32 v1, vcc_lo, v1
	ds_read_b32 v55, v28 offset:16
	v_and_b32_e32 v4, v4, v56
	v_and_b32_e32 v1, v50, v1
	;; [unrolled: 1-line block ×3, first 2 shown]
	v_mbcnt_lo_u32_b32 v3, v1, 0
	v_mbcnt_hi_u32_b32 v56, v2, v3
	v_cmp_ne_u64_e32 vcc, 0, v[1:2]
	v_cmp_eq_u32_e64 s[0:1], 0, v56
	s_and_b64 s[2:3], vcc, s[0:1]
	; wave barrier
	s_and_saveexec_b64 s[0:1], s[2:3]
	s_cbranch_execz .LBB25_177
; %bb.176:
	v_bcnt_u32_b32 v1, v1, 0
	v_bcnt_u32_b32 v1, v2, v1
	s_waitcnt lgkmcnt(0)
	v_add_u32_e32 v1, v55, v1
	ds_write_b32 v28, v1 offset:16
.LBB25_177:
	s_or_b64 exec, exec, s[0:1]
	; wave barrier
	s_waitcnt lgkmcnt(0)
	s_barrier
	ds_read2_b32 v[3:4], v19 offset0:4 offset1:5
	ds_read2_b32 v[1:2], v19 offset0:6 offset1:7
	ds_read_b32 v50, v19 offset:32
	v_min_u32_e32 v20, 0xc0, v20
	v_or_b32_e32 v20, 63, v20
	s_waitcnt lgkmcnt(1)
	v_add3_u32 v57, v4, v3, v1
	s_waitcnt lgkmcnt(0)
	v_add3_u32 v50, v57, v2, v50
	v_and_b32_e32 v57, 15, v8
	v_cmp_ne_u32_e32 vcc, 0, v57
	v_mov_b32_dpp v58, v50 row_shr:1 row_mask:0xf bank_mask:0xf
	v_cndmask_b32_e32 v58, 0, v58, vcc
	v_add_u32_e32 v50, v58, v50
	v_cmp_lt_u32_e32 vcc, 1, v57
	s_nop 0
	v_mov_b32_dpp v58, v50 row_shr:2 row_mask:0xf bank_mask:0xf
	v_cndmask_b32_e32 v58, 0, v58, vcc
	v_add_u32_e32 v50, v50, v58
	v_cmp_lt_u32_e32 vcc, 3, v57
	s_nop 0
	;; [unrolled: 5-line block ×3, first 2 shown]
	v_mov_b32_dpp v58, v50 row_shr:8 row_mask:0xf bank_mask:0xf
	v_cndmask_b32_e32 v57, 0, v58, vcc
	v_add_u32_e32 v50, v50, v57
	v_bfe_i32 v58, v8, 4, 1
	v_cmp_lt_u32_e32 vcc, 31, v8
	v_mov_b32_dpp v57, v50 row_bcast:15 row_mask:0xf bank_mask:0xf
	v_and_b32_e32 v57, v58, v57
	v_add_u32_e32 v50, v50, v57
	v_lshrrev_b32_e32 v58, 6, v0
	s_nop 0
	v_mov_b32_dpp v57, v50 row_bcast:31 row_mask:0xf bank_mask:0xf
	v_cndmask_b32_e32 v57, 0, v57, vcc
	v_add_u32_e32 v57, v50, v57
	v_cmp_eq_u32_e32 vcc, v0, v20
	s_and_saveexec_b64 s[0:1], vcc
; %bb.178:
	v_lshlrev_b32_e32 v20, 2, v58
	ds_write_b32 v20, v57
; %bb.179:
	s_or_b64 exec, exec, s[0:1]
	v_cmp_gt_u32_e32 vcc, 4, v0
	v_lshlrev_b32_e32 v50, 2, v0
	s_waitcnt lgkmcnt(0)
	s_barrier
	s_and_saveexec_b64 s[0:1], vcc
	s_cbranch_execz .LBB25_181
; %bb.180:
	ds_read_b32 v20, v50
	v_and_b32_e32 v59, 3, v8
	v_cmp_ne_u32_e32 vcc, 0, v59
	s_waitcnt lgkmcnt(0)
	v_mov_b32_dpp v60, v20 row_shr:1 row_mask:0xf bank_mask:0xf
	v_cndmask_b32_e32 v60, 0, v60, vcc
	v_add_u32_e32 v20, v60, v20
	v_cmp_lt_u32_e32 vcc, 1, v59
	s_nop 0
	v_mov_b32_dpp v60, v20 row_shr:2 row_mask:0xf bank_mask:0xf
	v_cndmask_b32_e32 v59, 0, v60, vcc
	v_add_u32_e32 v20, v20, v59
	ds_write_b32 v50, v20
.LBB25_181:
	s_or_b64 exec, exec, s[0:1]
	v_cmp_lt_u32_e32 vcc, 63, v0
	v_mov_b32_e32 v20, 0
	s_waitcnt lgkmcnt(0)
	s_barrier
	s_and_saveexec_b64 s[0:1], vcc
; %bb.182:
	v_lshl_add_u32 v20, v58, 2, -4
	ds_read_b32 v20, v20
; %bb.183:
	s_or_b64 exec, exec, s[0:1]
	v_add_u32_e32 v58, -1, v8
	v_and_b32_e32 v59, 64, v8
	v_cmp_lt_i32_e32 vcc, v58, v59
	v_cndmask_b32_e32 v58, v58, v8, vcc
	s_waitcnt lgkmcnt(0)
	v_add_u32_e32 v57, v20, v57
	v_lshlrev_b32_e32 v58, 2, v58
	ds_bpermute_b32 v57, v58, v57
	v_cmp_eq_u32_e32 vcc, 0, v8
	s_movk_i32 s0, 0x100
	s_waitcnt lgkmcnt(0)
	v_cndmask_b32_e32 v20, v57, v20, vcc
	v_cmp_ne_u32_e32 vcc, 0, v0
	v_cndmask_b32_e32 v20, 0, v20, vcc
	v_add_u32_e32 v3, v20, v3
	v_add_u32_e32 v4, v3, v4
	;; [unrolled: 1-line block ×4, first 2 shown]
	ds_write2_b32 v19, v20, v3 offset0:4 offset1:5
	ds_write2_b32 v19, v4, v1 offset0:6 offset1:7
	ds_write_b32 v19, v2 offset:32
	s_waitcnt lgkmcnt(0)
	s_barrier
	ds_read_b32 v2, v23 offset:16
	ds_read_b32 v3, v46 offset:16
	ds_read_b32 v4, v49 offset:16
	ds_read_b32 v20, v53 offset:16
	ds_read_b32 v46, v28 offset:16
	ds_read_b32 v23, v24 offset:16
	ds_read_b32 v24, v27 offset:16
	ds_read_b32 v27, v31 offset:16
	ds_read_b32 v49, v34 offset:16
	ds_read_b32 v37, v37 offset:16
	ds_read_b32 v40, v40 offset:16
	ds_read_b32 v43, v43 offset:16
	ds_read_b32 v19, v19 offset:16
	v_add_u32_e32 v28, 1, v0
	v_cmp_ne_u32_e32 vcc, s0, v28
	v_mov_b32_e32 v1, 0xc00
	s_and_saveexec_b64 s[0:1], vcc
; %bb.184:
	v_mul_u32_u24_e32 v1, 20, v28
	ds_read_b32 v1, v1 offset:16
; %bb.185:
	s_or_b64 exec, exec, s[0:1]
	s_waitcnt lgkmcnt(12)
	v_add_u32_e32 v34, v2, v21
	s_waitcnt lgkmcnt(7)
	v_add3_u32 v31, v25, v22, v23
	v_lshlrev_b32_e32 v2, 2, v34
	s_waitcnt lgkmcnt(6)
	v_add3_u32 v29, v29, v26, v24
	s_waitcnt lgkmcnt(0)
	s_barrier
	ds_write_b32 v2, v5 offset:2048
	v_lshlrev_b32_e32 v2, 2, v31
	v_add3_u32 v28, v32, v30, v27
	ds_write_b32 v2, v18 offset:2048
	v_lshlrev_b32_e32 v2, 2, v29
	v_add3_u32 v27, v35, v33, v49
	;; [unrolled: 3-line block ×9, first 2 shown]
	ds_write_b32 v2, v10 offset:2048
	v_lshlrev_b32_e32 v2, 2, v21
	ds_write_b32 v2, v9 offset:2048
	v_lshlrev_b32_e32 v2, 2, v20
	ds_write_b32 v2, v6 offset:2048
	v_sub_u32_e32 v9, v1, v19
	v_lshl_or_b32 v1, s6, 8, v0
	v_mov_b32_e32 v2, 0
	v_lshlrev_b64 v[3:4], 2, v[1:2]
	v_mov_b32_e32 v10, s73
	v_add_co_u32_e32 v3, vcc, s72, v3
	v_addc_co_u32_e32 v4, vcc, v10, v4, vcc
	v_or_b32_e32 v1, 2.0, v9
	s_mov_b64 s[0:1], 0
	s_brev_b32 s10, -4
	v_mov_b32_e32 v11, 0
	s_waitcnt lgkmcnt(0)
	s_barrier
	global_store_dword v[3:4], v1, off
                                        ; implicit-def: $sgpr2_sgpr3
	s_branch .LBB25_188
.LBB25_186:                             ;   in Loop: Header=BB25_188 Depth=1
	s_or_b64 exec, exec, s[4:5]
.LBB25_187:                             ;   in Loop: Header=BB25_188 Depth=1
	s_or_b64 exec, exec, s[2:3]
	v_and_b32_e32 v5, 0x3fffffff, v1
	v_add_u32_e32 v11, v5, v11
	v_cmp_gt_i32_e64 s[2:3], -2.0, v1
	s_and_b64 s[4:5], exec, s[2:3]
	s_or_b64 s[0:1], s[4:5], s[0:1]
	s_andn2_b64 exec, exec, s[0:1]
	s_cbranch_execz .LBB25_193
.LBB25_188:                             ; =>This Loop Header: Depth=1
                                        ;     Child Loop BB25_191 Depth 2
	s_or_b64 s[2:3], s[2:3], exec
	s_cmp_eq_u32 s7, 0
	s_cbranch_scc1 .LBB25_192
; %bb.189:                              ;   in Loop: Header=BB25_188 Depth=1
	s_add_i32 s7, s7, -1
	v_lshl_or_b32 v1, s7, 8, v0
	v_lshlrev_b64 v[5:6], 2, v[1:2]
	v_add_co_u32_e32 v5, vcc, s72, v5
	v_addc_co_u32_e32 v6, vcc, v10, v6, vcc
	global_load_dword v1, v[5:6], off glc
	s_waitcnt vmcnt(0)
	v_cmp_gt_u32_e32 vcc, 2.0, v1
	s_and_saveexec_b64 s[2:3], vcc
	s_cbranch_execz .LBB25_187
; %bb.190:                              ;   in Loop: Header=BB25_188 Depth=1
	s_mov_b64 s[4:5], 0
.LBB25_191:                             ;   Parent Loop BB25_188 Depth=1
                                        ; =>  This Inner Loop Header: Depth=2
	global_load_dword v1, v[5:6], off glc
	s_waitcnt vmcnt(0)
	v_cmp_lt_u32_e32 vcc, s10, v1
	s_or_b64 s[4:5], vcc, s[4:5]
	s_andn2_b64 exec, exec, s[4:5]
	s_cbranch_execnz .LBB25_191
	s_branch .LBB25_186
.LBB25_192:                             ;   in Loop: Header=BB25_188 Depth=1
                                        ; implicit-def: $sgpr7
	s_and_b64 s[4:5], exec, s[2:3]
	s_or_b64 s[0:1], s[4:5], s[0:1]
	s_andn2_b64 exec, exec, s[0:1]
	s_cbranch_execnz .LBB25_188
.LBB25_193:
	s_or_b64 exec, exec, s[0:1]
	v_add_u32_e32 v2, v11, v9
	v_or_b32_e32 v2, 0x80000000, v2
	v_lshlrev_b32_e32 v1, 3, v0
	global_store_dword v[3:4], v2, off
	global_load_dwordx2 v[2:3], v1, s[64:65]
	v_sub_co_u32_e32 v4, vcc, v11, v19
	v_subb_co_u32_e64 v5, s[0:1], 0, 0, vcc
	v_sub_u32_e32 v46, v1, v50
	v_mov_b32_e32 v6, s59
	v_mov_b32_e32 v18, s59
	;; [unrolled: 1-line block ×4, first 2 shown]
	v_or_b32_e32 v55, 0x400, v0
	v_mov_b32_e32 v47, s59
	v_or_b32_e32 v64, 0x700, v0
	s_lshl_b64 s[0:1], s[54:55], 3
	s_add_u32 s0, s60, s0
	s_addc_u32 s1, s61, s1
	v_lshlrev_b32_e32 v7, 3, v7
	v_or_b32_e32 v65, 0x800, v0
	v_mov_b32_e32 v69, s59
	v_or_b32_e32 v70, 0xa00, v0
	s_add_i32 s8, s8, -1
	s_cmp_lg_u32 s6, s8
	s_waitcnt vmcnt(0)
	v_add_co_u32_e32 v2, vcc, v4, v2
	v_addc_co_u32_e32 v3, vcc, v5, v3, vcc
	ds_write_b64 v1, v[2:3]
	s_waitcnt lgkmcnt(0)
	s_barrier
	ds_read2st64_b32 v[2:3], v46 offset0:8 offset1:12
	ds_read2st64_b32 v[4:5], v46 offset0:16 offset1:20
	;; [unrolled: 1-line block ×4, first 2 shown]
	s_waitcnt lgkmcnt(2)
	v_lshrrev_b32_e32 v16, s68, v4
	v_lshrrev_b32_e32 v14, s68, v2
	;; [unrolled: 1-line block ×4, first 2 shown]
	s_waitcnt lgkmcnt(1)
	v_lshrrev_b32_e32 v32, s68, v10
	v_lshrrev_b32_e32 v33, s68, v11
	s_waitcnt lgkmcnt(0)
	v_lshrrev_b32_e32 v35, s68, v12
	v_lshrrev_b32_e32 v36, s68, v13
	v_and_b32_e32 v14, s9, v14
	v_and_b32_e32 v15, s9, v15
	;; [unrolled: 1-line block ×8, first 2 shown]
	v_lshlrev_b32_e32 v56, 3, v14
	v_lshlrev_b32_e32 v57, 3, v15
	;; [unrolled: 1-line block ×8, first 2 shown]
	ds_read_b64 v[14:15], v56
	ds_read_b64 v[16:17], v57
	;; [unrolled: 1-line block ×8, first 2 shown]
	s_waitcnt lgkmcnt(7)
	v_lshlrev_b64 v[14:15], 2, v[14:15]
	s_waitcnt lgkmcnt(6)
	v_lshlrev_b64 v[16:17], 2, v[16:17]
	v_add_co_u32_e32 v14, vcc, s58, v14
	v_addc_co_u32_e32 v6, vcc, v6, v15, vcc
	s_waitcnt lgkmcnt(5)
	v_lshlrev_b64 v[32:33], 2, v[32:33]
	v_add_co_u32_e32 v16, vcc, s58, v16
	v_addc_co_u32_e32 v17, vcc, v18, v17, vcc
	;; [unrolled: 4-line block ×3, first 2 shown]
	v_add_co_u32_e32 v35, vcc, s58, v35
	v_addc_co_u32_e32 v36, vcc, v45, v36, vcc
	v_add_co_u32_e32 v14, vcc, v14, v50
	v_addc_co_u32_e32 v15, vcc, 0, v6, vcc
	;; [unrolled: 2-line block ×4, first 2 shown]
	s_waitcnt lgkmcnt(3)
	v_lshlrev_b64 v[37:38], 2, v[37:38]
	v_add_co_u32_e32 v35, vcc, v35, v50
	v_addc_co_u32_e32 v36, vcc, 0, v36, vcc
	global_store_dword v[14:15], v2, off
	global_store_dword v[16:17], v3, off offset:1024
	global_store_dword v[32:33], v4, off offset:2048
	;; [unrolled: 1-line block ×3, first 2 shown]
	v_add_co_u32_e32 v2, vcc, s58, v37
	v_addc_co_u32_e32 v3, vcc, v47, v38, vcc
	v_lshlrev_b32_e32 v4, 2, v55
	v_add_co_u32_e32 v2, vcc, v2, v4
	v_addc_co_u32_e32 v3, vcc, 0, v3, vcc
	global_store_dword v[2:3], v10, off
	s_waitcnt lgkmcnt(2)
	v_lshlrev_b64 v[2:3], 2, v[39:40]
	v_or_b32_e32 v18, 0x500, v0
	v_mov_b32_e32 v4, s59
	v_add_co_u32_e32 v2, vcc, s58, v2
	v_addc_co_u32_e32 v3, vcc, v4, v3, vcc
	v_lshlrev_b32_e32 v4, 2, v18
	v_add_co_u32_e32 v2, vcc, v2, v4
	v_addc_co_u32_e32 v3, vcc, 0, v3, vcc
	global_store_dword v[2:3], v11, off
	s_waitcnt lgkmcnt(1)
	v_lshlrev_b64 v[2:3], 2, v[41:42]
	v_or_b32_e32 v30, 0x600, v0
	v_mov_b32_e32 v4, s59
	v_add_co_u32_e32 v2, vcc, s58, v2
	v_addc_co_u32_e32 v3, vcc, v4, v3, vcc
	v_lshlrev_b32_e32 v4, 2, v30
	v_add_co_u32_e32 v2, vcc, v2, v4
	v_addc_co_u32_e32 v3, vcc, 0, v3, vcc
	global_store_dword v[2:3], v12, off
	s_waitcnt lgkmcnt(0)
	v_lshlrev_b64 v[2:3], 2, v[43:44]
	v_mov_b32_e32 v4, s59
	v_add_co_u32_e32 v5, vcc, s58, v2
	v_addc_co_u32_e32 v6, vcc, v4, v3, vcc
	ds_read2st64_b32 v[2:3], v46 offset0:40 offset1:44
	v_lshlrev_b32_e32 v4, 2, v64
	v_add_co_u32_e32 v4, vcc, v5, v4
	v_addc_co_u32_e32 v5, vcc, 0, v6, vcc
	s_waitcnt lgkmcnt(0)
	v_lshrrev_b32_e32 v6, s68, v3
	global_store_dword v[4:5], v13, off
	v_lshrrev_b32_e32 v4, s68, v2
	v_and_b32_e32 v6, s9, v6
	v_and_b32_e32 v4, s9, v4
	v_lshlrev_b32_e32 v67, 3, v6
	v_lshlrev_b32_e32 v6, 3, v8
	;; [unrolled: 1-line block ×3, first 2 shown]
	ds_read2st64_b32 v[4:5], v46 offset0:48 offset1:52
	ds_read_b64 v[10:11], v66
	v_mov_b32_e32 v8, s1
	v_add_co_u32_e32 v6, vcc, s0, v6
	v_addc_co_u32_e32 v8, vcc, 0, v8, vcc
	v_add_co_u32_e32 v6, vcc, v6, v7
	v_addc_co_u32_e32 v7, vcc, 0, v8, vcc
	s_waitcnt lgkmcnt(1)
	v_lshrrev_b32_e32 v14, s68, v4
	global_load_dwordx2 v[12:13], v[6:7], off
	global_load_dwordx2 v[16:17], v[6:7], off offset:1024
	v_and_b32_e32 v8, s9, v14
	global_load_dwordx2 v[14:15], v[6:7], off offset:512
	s_movk_i32 s0, 0x1000
	global_load_dwordx2 v[32:33], v[6:7], off offset:1536
	global_load_dwordx2 v[35:36], v[6:7], off offset:2048
	;; [unrolled: 1-line block ×5, first 2 shown]
	v_add_co_u32_e32 v6, vcc, s0, v6
	v_addc_co_u32_e32 v7, vcc, 0, v7, vcc
	v_lshrrev_b32_e32 v45, s68, v5
	global_load_dwordx2 v[43:44], v[6:7], off
	v_and_b32_e32 v47, s9, v45
	global_load_dwordx2 v[45:46], v[6:7], off offset:512
	v_lshlrev_b32_e32 v68, 3, v47
	global_load_dwordx2 v[47:48], v[6:7], off offset:1024
	global_load_dwordx2 v[49:50], v[6:7], off offset:1536
	s_waitcnt lgkmcnt(0)
	v_lshlrev_b64 v[10:11], 2, v[10:11]
	v_lshlrev_b32_e32 v8, 3, v8
	ds_read_b64 v[6:7], v67
	ds_read_b64 v[51:52], v8
	;; [unrolled: 1-line block ×3, first 2 shown]
	v_add_co_u32_e32 v10, vcc, s58, v10
	v_addc_co_u32_e32 v11, vcc, v69, v11, vcc
	v_lshlrev_b32_e32 v69, 2, v65
	v_add_co_u32_e32 v10, vcc, v10, v69
	s_waitcnt lgkmcnt(2)
	v_lshlrev_b64 v[6:7], 2, v[6:7]
	v_addc_co_u32_e32 v11, vcc, 0, v11, vcc
	global_store_dword v[10:11], v2, off
	v_or_b32_e32 v69, 0x900, v0
	v_mov_b32_e32 v2, s59
	v_add_co_u32_e32 v6, vcc, s58, v6
	v_addc_co_u32_e32 v2, vcc, v2, v7, vcc
	v_lshlrev_b32_e32 v7, 2, v69
	v_add_co_u32_e32 v6, vcc, v6, v7
	v_addc_co_u32_e32 v7, vcc, 0, v2, vcc
	global_store_dword v[6:7], v3, off
	s_waitcnt lgkmcnt(1)
	v_lshlrev_b64 v[2:3], 2, v[51:52]
	v_mov_b32_e32 v6, s59
	v_add_co_u32_e32 v2, vcc, s58, v2
	v_addc_co_u32_e32 v3, vcc, v6, v3, vcc
	v_lshlrev_b32_e32 v6, 2, v70
	v_add_co_u32_e32 v2, vcc, v2, v6
	v_addc_co_u32_e32 v3, vcc, 0, v3, vcc
	global_store_dword v[2:3], v4, off
	s_waitcnt lgkmcnt(0)
	v_lshlrev_b64 v[2:3], 2, v[53:54]
	v_or_b32_e32 v0, 0xb00, v0
	v_mov_b32_e32 v4, s59
	v_add_co_u32_e32 v2, vcc, s58, v2
	v_addc_co_u32_e32 v3, vcc, v4, v3, vcc
	v_lshlrev_b32_e32 v4, 2, v0
	v_add_co_u32_e32 v2, vcc, v2, v4
	v_addc_co_u32_e32 v3, vcc, 0, v3, vcc
	global_store_dword v[2:3], v5, off
	v_lshlrev_b32_e32 v2, 3, v34
	s_waitcnt vmcnt(0)
	s_barrier
	v_lshlrev_b32_e32 v0, 3, v0
	ds_write_b64 v2, v[12:13] offset:2048
	v_lshlrev_b32_e32 v2, 3, v31
	ds_write_b64 v2, v[14:15] offset:2048
	;; [unrolled: 2-line block ×12, first 2 shown]
	s_waitcnt lgkmcnt(0)
	s_barrier
	ds_read_b64 v[6:7], v56
	ds_read2st64_b64 v[2:5], v1 offset0:4 offset1:8
	ds_read_b64 v[10:11], v57
	ds_read_b64 v[12:13], v58
	ds_read_b64 v[14:15], v59
	s_waitcnt lgkmcnt(4)
	v_lshlrev_b64 v[6:7], 3, v[6:7]
	v_mov_b32_e32 v16, s63
	v_add_co_u32_e32 v6, vcc, s62, v6
	v_addc_co_u32_e32 v7, vcc, v16, v7, vcc
	v_add_co_u32_e32 v6, vcc, v6, v1
	v_addc_co_u32_e32 v7, vcc, 0, v7, vcc
	s_waitcnt lgkmcnt(3)
	global_store_dwordx2 v[6:7], v[2:3], off
	s_waitcnt lgkmcnt(2)
	v_lshlrev_b64 v[2:3], 3, v[10:11]
	v_mov_b32_e32 v6, s63
	v_add_co_u32_e32 v2, vcc, s62, v2
	v_addc_co_u32_e32 v3, vcc, v6, v3, vcc
	v_add_co_u32_e32 v2, vcc, v2, v1
	v_addc_co_u32_e32 v3, vcc, 0, v3, vcc
	s_waitcnt lgkmcnt(1)
	v_lshlrev_b64 v[6:7], 3, v[12:13]
	global_store_dwordx2 v[2:3], v[4:5], off offset:2048
	ds_read2st64_b64 v[2:5], v1 offset0:12 offset1:16
	v_mov_b32_e32 v10, s63
	v_add_co_u32_e32 v6, vcc, s62, v6
	v_addc_co_u32_e32 v7, vcc, v10, v7, vcc
	v_or_b32_e32 v10, 0x1000, v1
	v_add_co_u32_e32 v6, vcc, v6, v10
	v_addc_co_u32_e32 v7, vcc, 0, v7, vcc
	s_waitcnt lgkmcnt(0)
	global_store_dwordx2 v[6:7], v[2:3], off
	v_lshlrev_b64 v[2:3], 3, v[14:15]
	v_mov_b32_e32 v6, s63
	v_add_co_u32_e32 v2, vcc, s62, v2
	v_addc_co_u32_e32 v3, vcc, v6, v3, vcc
	v_or_b32_e32 v6, 0x1800, v1
	v_add_co_u32_e32 v2, vcc, v2, v6
	v_addc_co_u32_e32 v3, vcc, 0, v3, vcc
	global_store_dwordx2 v[2:3], v[4:5], off
	ds_read_b64 v[6:7], v60
	ds_read2st64_b64 v[2:5], v1 offset0:20 offset1:24
	ds_read_b64 v[10:11], v61
	ds_read_b64 v[12:13], v62
	;; [unrolled: 1-line block ×3, first 2 shown]
	s_waitcnt lgkmcnt(4)
	v_lshlrev_b64 v[6:7], 3, v[6:7]
	v_add_co_u32_e32 v6, vcc, s62, v6
	v_addc_co_u32_e32 v7, vcc, v16, v7, vcc
	v_lshlrev_b32_e32 v16, 3, v55
	v_add_co_u32_e32 v6, vcc, v6, v16
	v_addc_co_u32_e32 v7, vcc, 0, v7, vcc
	s_waitcnt lgkmcnt(3)
	global_store_dwordx2 v[6:7], v[2:3], off
	s_waitcnt lgkmcnt(2)
	v_lshlrev_b64 v[2:3], 3, v[10:11]
	v_mov_b32_e32 v6, s63
	v_add_co_u32_e32 v2, vcc, s62, v2
	v_addc_co_u32_e32 v3, vcc, v6, v3, vcc
	v_lshlrev_b32_e32 v6, 3, v18
	v_add_co_u32_e32 v2, vcc, v2, v6
	v_addc_co_u32_e32 v3, vcc, 0, v3, vcc
	s_waitcnt lgkmcnt(1)
	v_lshlrev_b64 v[6:7], 3, v[12:13]
	global_store_dwordx2 v[2:3], v[4:5], off
	ds_read2st64_b64 v[2:5], v1 offset0:28 offset1:32
	v_mov_b32_e32 v10, s63
	v_add_co_u32_e32 v6, vcc, s62, v6
	v_addc_co_u32_e32 v7, vcc, v10, v7, vcc
	v_lshlrev_b32_e32 v10, 3, v30
	v_add_co_u32_e32 v6, vcc, v6, v10
	v_addc_co_u32_e32 v7, vcc, 0, v7, vcc
	s_waitcnt lgkmcnt(0)
	global_store_dwordx2 v[6:7], v[2:3], off
	v_lshlrev_b64 v[2:3], 3, v[14:15]
	v_mov_b32_e32 v6, s63
	v_add_co_u32_e32 v2, vcc, s62, v2
	v_addc_co_u32_e32 v3, vcc, v6, v3, vcc
	v_lshlrev_b32_e32 v6, 3, v64
	v_add_co_u32_e32 v2, vcc, v2, v6
	v_addc_co_u32_e32 v3, vcc, 0, v3, vcc
	global_store_dwordx2 v[2:3], v[4:5], off
	ds_read_b64 v[6:7], v66
	ds_read2st64_b64 v[2:5], v1 offset0:36 offset1:40
	ds_read_b64 v[10:11], v67
	ds_read_b64 v[12:13], v8
	;; [unrolled: 1-line block ×3, first 2 shown]
	s_waitcnt lgkmcnt(4)
	v_lshlrev_b64 v[6:7], 3, v[6:7]
	v_mov_b32_e32 v8, s63
	v_add_co_u32_e32 v6, vcc, s62, v6
	v_addc_co_u32_e32 v7, vcc, v8, v7, vcc
	v_lshlrev_b32_e32 v8, 3, v65
	v_add_co_u32_e32 v6, vcc, v6, v8
	v_addc_co_u32_e32 v7, vcc, 0, v7, vcc
	s_waitcnt lgkmcnt(3)
	global_store_dwordx2 v[6:7], v[2:3], off
	s_waitcnt lgkmcnt(2)
	v_lshlrev_b64 v[2:3], 3, v[10:11]
	v_mov_b32_e32 v6, s63
	v_add_co_u32_e32 v2, vcc, s62, v2
	v_addc_co_u32_e32 v3, vcc, v6, v3, vcc
	v_lshlrev_b32_e32 v6, 3, v69
	v_add_co_u32_e32 v2, vcc, v2, v6
	v_addc_co_u32_e32 v3, vcc, 0, v3, vcc
	s_waitcnt lgkmcnt(1)
	v_lshlrev_b64 v[6:7], 3, v[12:13]
	global_store_dwordx2 v[2:3], v[4:5], off
	ds_read2st64_b64 v[2:5], v1 offset0:44 offset1:48
	v_mov_b32_e32 v8, s63
	v_add_co_u32_e32 v6, vcc, s62, v6
	v_addc_co_u32_e32 v7, vcc, v8, v7, vcc
	v_lshlrev_b32_e32 v8, 3, v70
	v_add_co_u32_e32 v6, vcc, v6, v8
	v_addc_co_u32_e32 v7, vcc, 0, v7, vcc
	s_waitcnt lgkmcnt(0)
	global_store_dwordx2 v[6:7], v[2:3], off
	v_lshlrev_b64 v[2:3], 3, v[14:15]
	v_mov_b32_e32 v6, s63
	v_add_co_u32_e32 v2, vcc, s62, v2
	v_addc_co_u32_e32 v3, vcc, v6, v3, vcc
	v_add_co_u32_e32 v2, vcc, v2, v0
	v_addc_co_u32_e32 v3, vcc, 0, v3, vcc
	global_store_dwordx2 v[2:3], v[4:5], off
	s_cbranch_scc1 .LBB25_195
; %bb.194:
	ds_read_b64 v[2:3], v1
	v_add_co_u32_e32 v0, vcc, v9, v19
	v_addc_co_u32_e64 v4, s[0:1], 0, 0, vcc
	s_waitcnt lgkmcnt(0)
	v_add_co_u32_e32 v2, vcc, v0, v2
	v_addc_co_u32_e32 v3, vcc, v4, v3, vcc
	global_store_dwordx2 v1, v[2:3], s[66:67]
.LBB25_195:
	s_endpgm
.LBB25_196:
	s_or_b64 exec, exec, s[0:1]
	s_and_saveexec_b64 s[0:1], s[26:27]
	s_cbranch_execz .LBB25_139
.LBB25_197:
	v_lshlrev_b32_e32 v3, 3, v62
	ds_read_b64 v[3:4], v3
	ds_read_b64 v[5:6], v32 offset:4096
	v_mov_b32_e32 v7, s63
	s_waitcnt lgkmcnt(1)
	v_lshlrev_b64 v[3:4], 3, v[3:4]
	v_add_co_u32_e32 v3, vcc, s62, v3
	v_addc_co_u32_e32 v4, vcc, v7, v4, vcc
	v_add_co_u32_e32 v3, vcc, v3, v32
	v_addc_co_u32_e32 v4, vcc, 0, v4, vcc
	s_waitcnt lgkmcnt(0)
	global_store_dwordx2 v[3:4], v[5:6], off offset:2048
	s_or_b64 exec, exec, s[0:1]
	s_and_saveexec_b64 s[0:1], s[28:29]
	s_cbranch_execnz .LBB25_140
.LBB25_198:
	s_or_b64 exec, exec, s[0:1]
	s_and_saveexec_b64 s[0:1], s[30:31]
	s_cbranch_execz .LBB25_141
.LBB25_199:
	v_lshlrev_b32_e32 v3, 3, v60
	ds_read_b64 v[3:4], v3
	ds_read_b64 v[5:6], v32 offset:8192
	v_mov_b32_e32 v7, s63
	s_waitcnt lgkmcnt(1)
	v_lshlrev_b64 v[3:4], 3, v[3:4]
	v_add_co_u32_e32 v3, vcc, s62, v3
	v_addc_co_u32_e32 v4, vcc, v7, v4, vcc
	v_lshlrev_b32_e32 v7, 3, v46
	v_add_co_u32_e32 v3, vcc, v3, v7
	v_addc_co_u32_e32 v4, vcc, 0, v4, vcc
	s_waitcnt lgkmcnt(0)
	global_store_dwordx2 v[3:4], v[5:6], off
	s_or_b64 exec, exec, s[0:1]
	s_and_saveexec_b64 s[0:1], s[34:35]
	s_cbranch_execnz .LBB25_142
.LBB25_200:
	s_or_b64 exec, exec, s[0:1]
	s_and_saveexec_b64 s[0:1], s[36:37]
	s_cbranch_execz .LBB25_143
.LBB25_201:
	v_lshlrev_b32_e32 v3, 3, v58
	ds_read_b64 v[3:4], v3
	ds_read_b64 v[5:6], v32 offset:12288
	v_mov_b32_e32 v7, s63
	s_waitcnt lgkmcnt(1)
	v_lshlrev_b64 v[3:4], 3, v[3:4]
	v_add_co_u32_e32 v3, vcc, s62, v3
	v_addc_co_u32_e32 v4, vcc, v7, v4, vcc
	v_lshlrev_b32_e32 v7, 3, v48
	v_add_co_u32_e32 v3, vcc, v3, v7
	v_addc_co_u32_e32 v4, vcc, 0, v4, vcc
	s_waitcnt lgkmcnt(0)
	global_store_dwordx2 v[3:4], v[5:6], off
	s_or_b64 exec, exec, s[0:1]
	s_and_saveexec_b64 s[0:1], s[38:39]
	s_cbranch_execnz .LBB25_144
.LBB25_202:
	s_or_b64 exec, exec, s[0:1]
	s_and_saveexec_b64 s[0:1], s[40:41]
	s_cbranch_execz .LBB25_145
.LBB25_203:
	v_lshlrev_b32_e32 v3, 3, v56
	ds_read_b64 v[3:4], v3
	ds_read_b64 v[5:6], v32 offset:16384
	v_mov_b32_e32 v7, s63
	s_waitcnt lgkmcnt(1)
	v_lshlrev_b64 v[3:4], 3, v[3:4]
	v_add_co_u32_e32 v3, vcc, s62, v3
	v_addc_co_u32_e32 v4, vcc, v7, v4, vcc
	v_lshlrev_b32_e32 v7, 3, v50
	v_add_co_u32_e32 v3, vcc, v3, v7
	v_addc_co_u32_e32 v4, vcc, 0, v4, vcc
	s_waitcnt lgkmcnt(0)
	global_store_dwordx2 v[3:4], v[5:6], off
	s_or_b64 exec, exec, s[0:1]
	s_and_saveexec_b64 s[0:1], s[42:43]
	s_cbranch_execnz .LBB25_146
.LBB25_204:
	s_or_b64 exec, exec, s[0:1]
	s_and_saveexec_b64 s[0:1], s[44:45]
	s_cbranch_execz .LBB25_147
.LBB25_205:
	v_lshlrev_b32_e32 v3, 3, v28
	ds_read_b64 v[3:4], v3
	ds_read_b64 v[5:6], v32 offset:20480
	v_mov_b32_e32 v7, s63
	s_waitcnt lgkmcnt(1)
	v_lshlrev_b64 v[3:4], 3, v[3:4]
	v_add_co_u32_e32 v3, vcc, s62, v3
	v_addc_co_u32_e32 v4, vcc, v7, v4, vcc
	v_lshlrev_b32_e32 v7, 3, v52
	v_add_co_u32_e32 v3, vcc, v3, v7
	v_addc_co_u32_e32 v4, vcc, 0, v4, vcc
	s_waitcnt lgkmcnt(0)
	global_store_dwordx2 v[3:4], v[5:6], off
	s_or_b64 exec, exec, s[0:1]
	s_and_saveexec_b64 s[0:1], s[46:47]
	s_cbranch_execnz .LBB25_148
.LBB25_206:
	s_or_b64 exec, exec, s[0:1]
	s_and_saveexec_b64 s[0:1], s[48:49]
	s_cbranch_execz .LBB25_149
.LBB25_207:
	v_lshlrev_b32_e32 v3, 3, v27
	ds_read_b64 v[3:4], v3
	ds_read_b64 v[5:6], v32 offset:24576
	v_mov_b32_e32 v7, s63
	s_waitcnt lgkmcnt(1)
	v_lshlrev_b64 v[3:4], 3, v[3:4]
	v_add_co_u32_e32 v3, vcc, s62, v3
	v_addc_co_u32_e32 v4, vcc, v7, v4, vcc
	v_lshlrev_b32_e32 v7, 3, v54
	v_add_co_u32_e32 v3, vcc, v3, v7
	v_addc_co_u32_e32 v4, vcc, 0, v4, vcc
	s_waitcnt lgkmcnt(0)
	global_store_dwordx2 v[3:4], v[5:6], off
	s_or_b64 exec, exec, s[0:1]
	s_add_i32 s33, s33, -1
	s_cmp_eq_u32 s6, s33
	s_cbranch_scc1 .LBB25_150
	s_branch .LBB25_151
	.section	.rodata,"a",@progbits
	.p2align	6, 0x0
	.amdhsa_kernel _ZN7rocprim17ROCPRIM_304000_NS6detail25onesweep_iteration_kernelINS1_34wrapped_radix_sort_onesweep_configINS0_14default_configEjN2at4cuda3cub6detail10OpaqueTypeILi8EEEEELb0EPjSC_PSA_SD_mNS0_19identity_decomposerEEEvT1_T2_T3_T4_jPT5_SK_PNS1_23onesweep_lookback_stateET6_jjj
		.amdhsa_group_segment_fixed_size 26624
		.amdhsa_private_segment_fixed_size 0
		.amdhsa_kernarg_size 336
		.amdhsa_user_sgpr_count 6
		.amdhsa_user_sgpr_private_segment_buffer 1
		.amdhsa_user_sgpr_dispatch_ptr 0
		.amdhsa_user_sgpr_queue_ptr 0
		.amdhsa_user_sgpr_kernarg_segment_ptr 1
		.amdhsa_user_sgpr_dispatch_id 0
		.amdhsa_user_sgpr_flat_scratch_init 0
		.amdhsa_user_sgpr_private_segment_size 0
		.amdhsa_uses_dynamic_stack 0
		.amdhsa_system_sgpr_private_segment_wavefront_offset 0
		.amdhsa_system_sgpr_workgroup_id_x 1
		.amdhsa_system_sgpr_workgroup_id_y 0
		.amdhsa_system_sgpr_workgroup_id_z 0
		.amdhsa_system_sgpr_workgroup_info 0
		.amdhsa_system_vgpr_workitem_id 2
		.amdhsa_next_free_vgpr 85
		.amdhsa_next_free_sgpr 98
		.amdhsa_reserve_vcc 1
		.amdhsa_reserve_flat_scratch 0
		.amdhsa_float_round_mode_32 0
		.amdhsa_float_round_mode_16_64 0
		.amdhsa_float_denorm_mode_32 3
		.amdhsa_float_denorm_mode_16_64 3
		.amdhsa_dx10_clamp 1
		.amdhsa_ieee_mode 1
		.amdhsa_fp16_overflow 0
		.amdhsa_exception_fp_ieee_invalid_op 0
		.amdhsa_exception_fp_denorm_src 0
		.amdhsa_exception_fp_ieee_div_zero 0
		.amdhsa_exception_fp_ieee_overflow 0
		.amdhsa_exception_fp_ieee_underflow 0
		.amdhsa_exception_fp_ieee_inexact 0
		.amdhsa_exception_int_div_zero 0
	.end_amdhsa_kernel
	.section	.text._ZN7rocprim17ROCPRIM_304000_NS6detail25onesweep_iteration_kernelINS1_34wrapped_radix_sort_onesweep_configINS0_14default_configEjN2at4cuda3cub6detail10OpaqueTypeILi8EEEEELb0EPjSC_PSA_SD_mNS0_19identity_decomposerEEEvT1_T2_T3_T4_jPT5_SK_PNS1_23onesweep_lookback_stateET6_jjj,"axG",@progbits,_ZN7rocprim17ROCPRIM_304000_NS6detail25onesweep_iteration_kernelINS1_34wrapped_radix_sort_onesweep_configINS0_14default_configEjN2at4cuda3cub6detail10OpaqueTypeILi8EEEEELb0EPjSC_PSA_SD_mNS0_19identity_decomposerEEEvT1_T2_T3_T4_jPT5_SK_PNS1_23onesweep_lookback_stateET6_jjj,comdat
.Lfunc_end25:
	.size	_ZN7rocprim17ROCPRIM_304000_NS6detail25onesweep_iteration_kernelINS1_34wrapped_radix_sort_onesweep_configINS0_14default_configEjN2at4cuda3cub6detail10OpaqueTypeILi8EEEEELb0EPjSC_PSA_SD_mNS0_19identity_decomposerEEEvT1_T2_T3_T4_jPT5_SK_PNS1_23onesweep_lookback_stateET6_jjj, .Lfunc_end25-_ZN7rocprim17ROCPRIM_304000_NS6detail25onesweep_iteration_kernelINS1_34wrapped_radix_sort_onesweep_configINS0_14default_configEjN2at4cuda3cub6detail10OpaqueTypeILi8EEEEELb0EPjSC_PSA_SD_mNS0_19identity_decomposerEEEvT1_T2_T3_T4_jPT5_SK_PNS1_23onesweep_lookback_stateET6_jjj
                                        ; -- End function
	.set _ZN7rocprim17ROCPRIM_304000_NS6detail25onesweep_iteration_kernelINS1_34wrapped_radix_sort_onesweep_configINS0_14default_configEjN2at4cuda3cub6detail10OpaqueTypeILi8EEEEELb0EPjSC_PSA_SD_mNS0_19identity_decomposerEEEvT1_T2_T3_T4_jPT5_SK_PNS1_23onesweep_lookback_stateET6_jjj.num_vgpr, 71
	.set _ZN7rocprim17ROCPRIM_304000_NS6detail25onesweep_iteration_kernelINS1_34wrapped_radix_sort_onesweep_configINS0_14default_configEjN2at4cuda3cub6detail10OpaqueTypeILi8EEEEELb0EPjSC_PSA_SD_mNS0_19identity_decomposerEEEvT1_T2_T3_T4_jPT5_SK_PNS1_23onesweep_lookback_stateET6_jjj.num_agpr, 0
	.set _ZN7rocprim17ROCPRIM_304000_NS6detail25onesweep_iteration_kernelINS1_34wrapped_radix_sort_onesweep_configINS0_14default_configEjN2at4cuda3cub6detail10OpaqueTypeILi8EEEEELb0EPjSC_PSA_SD_mNS0_19identity_decomposerEEEvT1_T2_T3_T4_jPT5_SK_PNS1_23onesweep_lookback_stateET6_jjj.numbered_sgpr, 75
	.set _ZN7rocprim17ROCPRIM_304000_NS6detail25onesweep_iteration_kernelINS1_34wrapped_radix_sort_onesweep_configINS0_14default_configEjN2at4cuda3cub6detail10OpaqueTypeILi8EEEEELb0EPjSC_PSA_SD_mNS0_19identity_decomposerEEEvT1_T2_T3_T4_jPT5_SK_PNS1_23onesweep_lookback_stateET6_jjj.num_named_barrier, 0
	.set _ZN7rocprim17ROCPRIM_304000_NS6detail25onesweep_iteration_kernelINS1_34wrapped_radix_sort_onesweep_configINS0_14default_configEjN2at4cuda3cub6detail10OpaqueTypeILi8EEEEELb0EPjSC_PSA_SD_mNS0_19identity_decomposerEEEvT1_T2_T3_T4_jPT5_SK_PNS1_23onesweep_lookback_stateET6_jjj.private_seg_size, 0
	.set _ZN7rocprim17ROCPRIM_304000_NS6detail25onesweep_iteration_kernelINS1_34wrapped_radix_sort_onesweep_configINS0_14default_configEjN2at4cuda3cub6detail10OpaqueTypeILi8EEEEELb0EPjSC_PSA_SD_mNS0_19identity_decomposerEEEvT1_T2_T3_T4_jPT5_SK_PNS1_23onesweep_lookback_stateET6_jjj.uses_vcc, 1
	.set _ZN7rocprim17ROCPRIM_304000_NS6detail25onesweep_iteration_kernelINS1_34wrapped_radix_sort_onesweep_configINS0_14default_configEjN2at4cuda3cub6detail10OpaqueTypeILi8EEEEELb0EPjSC_PSA_SD_mNS0_19identity_decomposerEEEvT1_T2_T3_T4_jPT5_SK_PNS1_23onesweep_lookback_stateET6_jjj.uses_flat_scratch, 0
	.set _ZN7rocprim17ROCPRIM_304000_NS6detail25onesweep_iteration_kernelINS1_34wrapped_radix_sort_onesweep_configINS0_14default_configEjN2at4cuda3cub6detail10OpaqueTypeILi8EEEEELb0EPjSC_PSA_SD_mNS0_19identity_decomposerEEEvT1_T2_T3_T4_jPT5_SK_PNS1_23onesweep_lookback_stateET6_jjj.has_dyn_sized_stack, 0
	.set _ZN7rocprim17ROCPRIM_304000_NS6detail25onesweep_iteration_kernelINS1_34wrapped_radix_sort_onesweep_configINS0_14default_configEjN2at4cuda3cub6detail10OpaqueTypeILi8EEEEELb0EPjSC_PSA_SD_mNS0_19identity_decomposerEEEvT1_T2_T3_T4_jPT5_SK_PNS1_23onesweep_lookback_stateET6_jjj.has_recursion, 0
	.set _ZN7rocprim17ROCPRIM_304000_NS6detail25onesweep_iteration_kernelINS1_34wrapped_radix_sort_onesweep_configINS0_14default_configEjN2at4cuda3cub6detail10OpaqueTypeILi8EEEEELb0EPjSC_PSA_SD_mNS0_19identity_decomposerEEEvT1_T2_T3_T4_jPT5_SK_PNS1_23onesweep_lookback_stateET6_jjj.has_indirect_call, 0
	.section	.AMDGPU.csdata,"",@progbits
; Kernel info:
; codeLenInByte = 18508
; TotalNumSgprs: 79
; NumVgprs: 71
; ScratchSize: 0
; MemoryBound: 0
; FloatMode: 240
; IeeeMode: 1
; LDSByteSize: 26624 bytes/workgroup (compile time only)
; SGPRBlocks: 12
; VGPRBlocks: 21
; NumSGPRsForWavesPerEU: 102
; NumVGPRsForWavesPerEU: 85
; Occupancy: 2
; WaveLimiterHint : 1
; COMPUTE_PGM_RSRC2:SCRATCH_EN: 0
; COMPUTE_PGM_RSRC2:USER_SGPR: 6
; COMPUTE_PGM_RSRC2:TRAP_HANDLER: 0
; COMPUTE_PGM_RSRC2:TGID_X_EN: 1
; COMPUTE_PGM_RSRC2:TGID_Y_EN: 0
; COMPUTE_PGM_RSRC2:TGID_Z_EN: 0
; COMPUTE_PGM_RSRC2:TIDIG_COMP_CNT: 2
	.section	.AMDGPU.gpr_maximums,"",@progbits
	.set amdgpu.max_num_vgpr, 0
	.set amdgpu.max_num_agpr, 0
	.set amdgpu.max_num_sgpr, 0
	.section	.AMDGPU.csdata,"",@progbits
	.type	__hip_cuid_7075ba8b2d4fe405,@object ; @__hip_cuid_7075ba8b2d4fe405
	.section	.bss,"aw",@nobits
	.globl	__hip_cuid_7075ba8b2d4fe405
__hip_cuid_7075ba8b2d4fe405:
	.byte	0                               ; 0x0
	.size	__hip_cuid_7075ba8b2d4fe405, 1

	.ident	"AMD clang version 22.0.0git (https://github.com/RadeonOpenCompute/llvm-project roc-7.2.4 26084 f58b06dce1f9c15707c5f808fd002e18c2accf7e)"
	.section	".note.GNU-stack","",@progbits
	.addrsig
	.addrsig_sym __hip_cuid_7075ba8b2d4fe405
	.amdgpu_metadata
---
amdhsa.kernels:
  - .args:
      - .address_space:  global
        .offset:         0
        .size:           8
        .value_kind:     global_buffer
      - .address_space:  global
        .offset:         8
        .size:           8
        .value_kind:     global_buffer
      - .address_space:  global
        .offset:         16
        .size:           8
        .value_kind:     global_buffer
      - .address_space:  global
        .offset:         24
        .size:           8
        .value_kind:     global_buffer
      - .offset:         32
        .size:           4
        .value_kind:     by_value
      - .offset:         36
        .size:           1
        .value_kind:     by_value
      - .offset:         40
        .size:           4
        .value_kind:     by_value
      - .offset:         44
        .size:           4
        .value_kind:     by_value
      - .offset:         48
        .size:           4
        .value_kind:     hidden_block_count_x
      - .offset:         52
        .size:           4
        .value_kind:     hidden_block_count_y
      - .offset:         56
        .size:           4
        .value_kind:     hidden_block_count_z
      - .offset:         60
        .size:           2
        .value_kind:     hidden_group_size_x
      - .offset:         62
        .size:           2
        .value_kind:     hidden_group_size_y
      - .offset:         64
        .size:           2
        .value_kind:     hidden_group_size_z
      - .offset:         66
        .size:           2
        .value_kind:     hidden_remainder_x
      - .offset:         68
        .size:           2
        .value_kind:     hidden_remainder_y
      - .offset:         70
        .size:           2
        .value_kind:     hidden_remainder_z
      - .offset:         88
        .size:           8
        .value_kind:     hidden_global_offset_x
      - .offset:         96
        .size:           8
        .value_kind:     hidden_global_offset_y
      - .offset:         104
        .size:           8
        .value_kind:     hidden_global_offset_z
      - .offset:         112
        .size:           2
        .value_kind:     hidden_grid_dims
    .group_segment_fixed_size: 8192
    .kernarg_segment_align: 8
    .kernarg_segment_size: 304
    .language:       OpenCL C
    .language_version:
      - 2
      - 0
    .max_flat_workgroup_size: 256
    .name:           _ZN7rocprim17ROCPRIM_304000_NS6detail28radix_sort_block_sort_kernelINS1_36wrapped_radix_sort_block_sort_configINS0_13kernel_configILj256ELj4ELj4294967295EEEjN2at4cuda3cub6detail10OpaqueTypeILi8EEEEELb1EPKjPjPKSB_PSB_NS0_19identity_decomposerEEEvT1_T2_T3_T4_jT5_jj
    .private_segment_fixed_size: 0
    .sgpr_count:     50
    .sgpr_spill_count: 0
    .symbol:         _ZN7rocprim17ROCPRIM_304000_NS6detail28radix_sort_block_sort_kernelINS1_36wrapped_radix_sort_block_sort_configINS0_13kernel_configILj256ELj4ELj4294967295EEEjN2at4cuda3cub6detail10OpaqueTypeILi8EEEEELb1EPKjPjPKSB_PSB_NS0_19identity_decomposerEEEvT1_T2_T3_T4_jT5_jj.kd
    .uniform_work_group_size: 1
    .uses_dynamic_stack: false
    .vgpr_count:     53
    .vgpr_spill_count: 0
    .wavefront_size: 64
  - .args:           []
    .group_segment_fixed_size: 0
    .kernarg_segment_align: 4
    .kernarg_segment_size: 0
    .language:       OpenCL C
    .language_version:
      - 2
      - 0
    .max_flat_workgroup_size: 1024
    .name:           _ZN7rocprim17ROCPRIM_304000_NS6detail39device_merge_sort_compile_time_verifierINS1_36wrapped_merge_sort_block_sort_configINS1_28merge_sort_block_sort_configILj256ELj4ELNS0_20block_sort_algorithmE0EEEjN2at4cuda3cub6detail10OpaqueTypeILi8EEEEENS1_37wrapped_merge_sort_block_merge_configINS0_14default_configEjSC_EEEEvv
    .private_segment_fixed_size: 0
    .sgpr_count:     4
    .sgpr_spill_count: 0
    .symbol:         _ZN7rocprim17ROCPRIM_304000_NS6detail39device_merge_sort_compile_time_verifierINS1_36wrapped_merge_sort_block_sort_configINS1_28merge_sort_block_sort_configILj256ELj4ELNS0_20block_sort_algorithmE0EEEjN2at4cuda3cub6detail10OpaqueTypeILi8EEEEENS1_37wrapped_merge_sort_block_merge_configINS0_14default_configEjSC_EEEEvv.kd
    .uniform_work_group_size: 1
    .uses_dynamic_stack: false
    .vgpr_count:     0
    .vgpr_spill_count: 0
    .wavefront_size: 64
  - .args:
      - .address_space:  global
        .offset:         0
        .size:           8
        .value_kind:     global_buffer
      - .offset:         8
        .size:           4
        .value_kind:     by_value
      - .offset:         12
        .size:           4
        .value_kind:     by_value
      - .address_space:  global
        .offset:         16
        .size:           8
        .value_kind:     global_buffer
      - .offset:         24
        .size:           1
        .value_kind:     by_value
      - .offset:         28
        .size:           4
        .value_kind:     by_value
    .group_segment_fixed_size: 0
    .kernarg_segment_align: 8
    .kernarg_segment_size: 32
    .language:       OpenCL C
    .language_version:
      - 2
      - 0
    .max_flat_workgroup_size: 128
    .name:           _ZN7rocprim17ROCPRIM_304000_NS6detail45device_block_merge_mergepath_partition_kernelINS1_37wrapped_merge_sort_block_merge_configINS0_14default_configEjN2at4cuda3cub6detail10OpaqueTypeILi8EEEEEPjjNS1_19radix_merge_compareILb1ELb0EjNS0_19identity_decomposerEEEEEvT0_T1_jPSH_T2_SH_
    .private_segment_fixed_size: 0
    .sgpr_count:     11
    .sgpr_spill_count: 0
    .symbol:         _ZN7rocprim17ROCPRIM_304000_NS6detail45device_block_merge_mergepath_partition_kernelINS1_37wrapped_merge_sort_block_merge_configINS0_14default_configEjN2at4cuda3cub6detail10OpaqueTypeILi8EEEEEPjjNS1_19radix_merge_compareILb1ELb0EjNS0_19identity_decomposerEEEEEvT0_T1_jPSH_T2_SH_.kd
    .uniform_work_group_size: 1
    .uses_dynamic_stack: false
    .vgpr_count:     17
    .vgpr_spill_count: 0
    .wavefront_size: 64
  - .args:
      - .address_space:  global
        .offset:         0
        .size:           8
        .value_kind:     global_buffer
      - .address_space:  global
        .offset:         8
        .size:           8
        .value_kind:     global_buffer
      - .address_space:  global
        .offset:         16
        .size:           8
        .value_kind:     global_buffer
      - .address_space:  global
        .offset:         24
        .size:           8
        .value_kind:     global_buffer
      - .offset:         32
        .size:           4
        .value_kind:     by_value
      - .offset:         36
        .size:           4
        .value_kind:     by_value
      - .offset:         40
        .size:           4
        .value_kind:     by_value
      - .offset:         44
        .size:           1
        .value_kind:     by_value
      - .address_space:  global
        .offset:         48
        .size:           8
        .value_kind:     global_buffer
      - .address_space:  global
        .offset:         56
        .size:           8
        .value_kind:     global_buffer
      - .offset:         64
        .size:           4
        .value_kind:     hidden_block_count_x
      - .offset:         68
        .size:           4
        .value_kind:     hidden_block_count_y
      - .offset:         72
        .size:           4
        .value_kind:     hidden_block_count_z
      - .offset:         76
        .size:           2
        .value_kind:     hidden_group_size_x
      - .offset:         78
        .size:           2
        .value_kind:     hidden_group_size_y
      - .offset:         80
        .size:           2
        .value_kind:     hidden_group_size_z
      - .offset:         82
        .size:           2
        .value_kind:     hidden_remainder_x
      - .offset:         84
        .size:           2
        .value_kind:     hidden_remainder_y
      - .offset:         86
        .size:           2
        .value_kind:     hidden_remainder_z
      - .offset:         104
        .size:           8
        .value_kind:     hidden_global_offset_x
      - .offset:         112
        .size:           8
        .value_kind:     hidden_global_offset_y
      - .offset:         120
        .size:           8
        .value_kind:     hidden_global_offset_z
      - .offset:         128
        .size:           2
        .value_kind:     hidden_grid_dims
    .group_segment_fixed_size: 4112
    .kernarg_segment_align: 8
    .kernarg_segment_size: 320
    .language:       OpenCL C
    .language_version:
      - 2
      - 0
    .max_flat_workgroup_size: 128
    .name:           _ZN7rocprim17ROCPRIM_304000_NS6detail35device_block_merge_mergepath_kernelINS1_37wrapped_merge_sort_block_merge_configINS0_14default_configEjN2at4cuda3cub6detail10OpaqueTypeILi8EEEEEPjSC_PSA_SD_jNS1_19radix_merge_compareILb1ELb0EjNS0_19identity_decomposerEEEEEvT0_T1_T2_T3_T4_SL_jT5_PKSL_NS1_7vsmem_tE
    .private_segment_fixed_size: 0
    .sgpr_count:     36
    .sgpr_spill_count: 0
    .symbol:         _ZN7rocprim17ROCPRIM_304000_NS6detail35device_block_merge_mergepath_kernelINS1_37wrapped_merge_sort_block_merge_configINS0_14default_configEjN2at4cuda3cub6detail10OpaqueTypeILi8EEEEEPjSC_PSA_SD_jNS1_19radix_merge_compareILb1ELb0EjNS0_19identity_decomposerEEEEEvT0_T1_T2_T3_T4_SL_jT5_PKSL_NS1_7vsmem_tE.kd
    .uniform_work_group_size: 1
    .uses_dynamic_stack: false
    .vgpr_count:     24
    .vgpr_spill_count: 0
    .wavefront_size: 64
  - .args:
      - .address_space:  global
        .offset:         0
        .size:           8
        .value_kind:     global_buffer
      - .address_space:  global
        .offset:         8
        .size:           8
        .value_kind:     global_buffer
      - .address_space:  global
        .offset:         16
        .size:           8
        .value_kind:     global_buffer
      - .address_space:  global
        .offset:         24
        .size:           8
        .value_kind:     global_buffer
      - .offset:         32
        .size:           4
        .value_kind:     by_value
      - .offset:         36
        .size:           4
        .value_kind:     by_value
      - .offset:         40
        .size:           1
        .value_kind:     by_value
    .group_segment_fixed_size: 0
    .kernarg_segment_align: 8
    .kernarg_segment_size: 44
    .language:       OpenCL C
    .language_version:
      - 2
      - 0
    .max_flat_workgroup_size: 128
    .name:           _ZN7rocprim17ROCPRIM_304000_NS6detail33device_block_merge_oddeven_kernelINS1_37wrapped_merge_sort_block_merge_configINS0_14default_configEjN2at4cuda3cub6detail10OpaqueTypeILi8EEEEEPjSC_PSA_SD_jNS1_19radix_merge_compareILb1ELb0EjNS0_19identity_decomposerEEEEEvT0_T1_T2_T3_T4_SL_T5_
    .private_segment_fixed_size: 0
    .sgpr_count:     26
    .sgpr_spill_count: 0
    .symbol:         _ZN7rocprim17ROCPRIM_304000_NS6detail33device_block_merge_oddeven_kernelINS1_37wrapped_merge_sort_block_merge_configINS0_14default_configEjN2at4cuda3cub6detail10OpaqueTypeILi8EEEEEPjSC_PSA_SD_jNS1_19radix_merge_compareILb1ELb0EjNS0_19identity_decomposerEEEEEvT0_T1_T2_T3_T4_SL_T5_.kd
    .uniform_work_group_size: 1
    .uses_dynamic_stack: false
    .vgpr_count:     12
    .vgpr_spill_count: 0
    .wavefront_size: 64
  - .args:
      - .address_space:  global
        .offset:         0
        .size:           8
        .value_kind:     global_buffer
      - .offset:         8
        .size:           8
        .value_kind:     by_value
      - .address_space:  global
        .offset:         16
        .size:           8
        .value_kind:     global_buffer
      - .offset:         24
        .size:           1
        .value_kind:     by_value
      - .offset:         32
        .size:           4
        .value_kind:     hidden_block_count_x
      - .offset:         36
        .size:           4
        .value_kind:     hidden_block_count_y
      - .offset:         40
        .size:           4
        .value_kind:     hidden_block_count_z
      - .offset:         44
        .size:           2
        .value_kind:     hidden_group_size_x
      - .offset:         46
        .size:           2
        .value_kind:     hidden_group_size_y
      - .offset:         48
        .size:           2
        .value_kind:     hidden_group_size_z
      - .offset:         50
        .size:           2
        .value_kind:     hidden_remainder_x
      - .offset:         52
        .size:           2
        .value_kind:     hidden_remainder_y
      - .offset:         54
        .size:           2
        .value_kind:     hidden_remainder_z
      - .offset:         72
        .size:           8
        .value_kind:     hidden_global_offset_x
      - .offset:         80
        .size:           8
        .value_kind:     hidden_global_offset_y
      - .offset:         88
        .size:           8
        .value_kind:     hidden_global_offset_z
      - .offset:         96
        .size:           2
        .value_kind:     hidden_grid_dims
    .group_segment_fixed_size: 0
    .kernarg_segment_align: 8
    .kernarg_segment_size: 288
    .language:       OpenCL C
    .language_version:
      - 2
      - 0
    .max_flat_workgroup_size: 1024
    .name:           _ZN7rocprim17ROCPRIM_304000_NS6detail16transform_kernelINS1_24wrapped_transform_configINS0_14default_configEjEEjPjS6_NS0_8identityIjEEEEvT1_mT2_T3_
    .private_segment_fixed_size: 0
    .sgpr_count:     16
    .sgpr_spill_count: 0
    .symbol:         _ZN7rocprim17ROCPRIM_304000_NS6detail16transform_kernelINS1_24wrapped_transform_configINS0_14default_configEjEEjPjS6_NS0_8identityIjEEEEvT1_mT2_T3_.kd
    .uniform_work_group_size: 1
    .uses_dynamic_stack: false
    .vgpr_count:     8
    .vgpr_spill_count: 0
    .wavefront_size: 64
  - .args:
      - .address_space:  global
        .offset:         0
        .size:           8
        .value_kind:     global_buffer
      - .offset:         8
        .size:           8
        .value_kind:     by_value
      - .address_space:  global
        .offset:         16
        .size:           8
        .value_kind:     global_buffer
      - .offset:         24
        .size:           1
        .value_kind:     by_value
      - .offset:         32
        .size:           4
        .value_kind:     hidden_block_count_x
      - .offset:         36
        .size:           4
        .value_kind:     hidden_block_count_y
      - .offset:         40
        .size:           4
        .value_kind:     hidden_block_count_z
      - .offset:         44
        .size:           2
        .value_kind:     hidden_group_size_x
      - .offset:         46
        .size:           2
        .value_kind:     hidden_group_size_y
      - .offset:         48
        .size:           2
        .value_kind:     hidden_group_size_z
      - .offset:         50
        .size:           2
        .value_kind:     hidden_remainder_x
      - .offset:         52
        .size:           2
        .value_kind:     hidden_remainder_y
      - .offset:         54
        .size:           2
        .value_kind:     hidden_remainder_z
      - .offset:         72
        .size:           8
        .value_kind:     hidden_global_offset_x
      - .offset:         80
        .size:           8
        .value_kind:     hidden_global_offset_y
      - .offset:         88
        .size:           8
        .value_kind:     hidden_global_offset_z
      - .offset:         96
        .size:           2
        .value_kind:     hidden_grid_dims
    .group_segment_fixed_size: 0
    .kernarg_segment_align: 8
    .kernarg_segment_size: 288
    .language:       OpenCL C
    .language_version:
      - 2
      - 0
    .max_flat_workgroup_size: 512
    .name:           _ZN7rocprim17ROCPRIM_304000_NS6detail16transform_kernelINS1_24wrapped_transform_configINS0_14default_configEN2at4cuda3cub6detail10OpaqueTypeILi8EEEEESA_PSA_SC_NS0_8identityISA_EEEEvT1_mT2_T3_
    .private_segment_fixed_size: 0
    .sgpr_count:     14
    .sgpr_spill_count: 0
    .symbol:         _ZN7rocprim17ROCPRIM_304000_NS6detail16transform_kernelINS1_24wrapped_transform_configINS0_14default_configEN2at4cuda3cub6detail10OpaqueTypeILi8EEEEESA_PSA_SC_NS0_8identityISA_EEEEvT1_mT2_T3_.kd
    .uniform_work_group_size: 1
    .uses_dynamic_stack: false
    .vgpr_count:     3
    .vgpr_spill_count: 0
    .wavefront_size: 64
  - .args:
      - .address_space:  global
        .offset:         0
        .size:           8
        .value_kind:     global_buffer
      - .offset:         8
        .size:           4
        .value_kind:     by_value
      - .offset:         12
        .size:           4
        .value_kind:     by_value
      - .address_space:  global
        .offset:         16
        .size:           8
        .value_kind:     global_buffer
      - .offset:         24
        .size:           4
        .value_kind:     by_value
      - .offset:         28
        .size:           4
        .value_kind:     by_value
    .group_segment_fixed_size: 0
    .kernarg_segment_align: 8
    .kernarg_segment_size: 32
    .language:       OpenCL C
    .language_version:
      - 2
      - 0
    .max_flat_workgroup_size: 128
    .name:           _ZN7rocprim17ROCPRIM_304000_NS6detail45device_block_merge_mergepath_partition_kernelINS1_37wrapped_merge_sort_block_merge_configINS0_14default_configEjN2at4cuda3cub6detail10OpaqueTypeILi8EEEEEPjjNS1_19radix_merge_compareILb1ELb1EjNS0_19identity_decomposerEEEEEvT0_T1_jPSH_T2_SH_
    .private_segment_fixed_size: 0
    .sgpr_count:     12
    .sgpr_spill_count: 0
    .symbol:         _ZN7rocprim17ROCPRIM_304000_NS6detail45device_block_merge_mergepath_partition_kernelINS1_37wrapped_merge_sort_block_merge_configINS0_14default_configEjN2at4cuda3cub6detail10OpaqueTypeILi8EEEEEPjjNS1_19radix_merge_compareILb1ELb1EjNS0_19identity_decomposerEEEEEvT0_T1_jPSH_T2_SH_.kd
    .uniform_work_group_size: 1
    .uses_dynamic_stack: false
    .vgpr_count:     17
    .vgpr_spill_count: 0
    .wavefront_size: 64
  - .args:
      - .address_space:  global
        .offset:         0
        .size:           8
        .value_kind:     global_buffer
      - .address_space:  global
        .offset:         8
        .size:           8
        .value_kind:     global_buffer
      - .address_space:  global
        .offset:         16
        .size:           8
        .value_kind:     global_buffer
      - .address_space:  global
        .offset:         24
        .size:           8
        .value_kind:     global_buffer
      - .offset:         32
        .size:           4
        .value_kind:     by_value
      - .offset:         36
        .size:           4
        .value_kind:     by_value
      - .offset:         40
        .size:           4
        .value_kind:     by_value
      - .offset:         44
        .size:           4
        .value_kind:     by_value
      - .address_space:  global
        .offset:         48
        .size:           8
        .value_kind:     global_buffer
      - .address_space:  global
        .offset:         56
        .size:           8
        .value_kind:     global_buffer
      - .offset:         64
        .size:           4
        .value_kind:     hidden_block_count_x
      - .offset:         68
        .size:           4
        .value_kind:     hidden_block_count_y
      - .offset:         72
        .size:           4
        .value_kind:     hidden_block_count_z
      - .offset:         76
        .size:           2
        .value_kind:     hidden_group_size_x
      - .offset:         78
        .size:           2
        .value_kind:     hidden_group_size_y
      - .offset:         80
        .size:           2
        .value_kind:     hidden_group_size_z
      - .offset:         82
        .size:           2
        .value_kind:     hidden_remainder_x
      - .offset:         84
        .size:           2
        .value_kind:     hidden_remainder_y
      - .offset:         86
        .size:           2
        .value_kind:     hidden_remainder_z
      - .offset:         104
        .size:           8
        .value_kind:     hidden_global_offset_x
      - .offset:         112
        .size:           8
        .value_kind:     hidden_global_offset_y
      - .offset:         120
        .size:           8
        .value_kind:     hidden_global_offset_z
      - .offset:         128
        .size:           2
        .value_kind:     hidden_grid_dims
    .group_segment_fixed_size: 4112
    .kernarg_segment_align: 8
    .kernarg_segment_size: 320
    .language:       OpenCL C
    .language_version:
      - 2
      - 0
    .max_flat_workgroup_size: 128
    .name:           _ZN7rocprim17ROCPRIM_304000_NS6detail35device_block_merge_mergepath_kernelINS1_37wrapped_merge_sort_block_merge_configINS0_14default_configEjN2at4cuda3cub6detail10OpaqueTypeILi8EEEEEPjSC_PSA_SD_jNS1_19radix_merge_compareILb1ELb1EjNS0_19identity_decomposerEEEEEvT0_T1_T2_T3_T4_SL_jT5_PKSL_NS1_7vsmem_tE
    .private_segment_fixed_size: 0
    .sgpr_count:     36
    .sgpr_spill_count: 0
    .symbol:         _ZN7rocprim17ROCPRIM_304000_NS6detail35device_block_merge_mergepath_kernelINS1_37wrapped_merge_sort_block_merge_configINS0_14default_configEjN2at4cuda3cub6detail10OpaqueTypeILi8EEEEEPjSC_PSA_SD_jNS1_19radix_merge_compareILb1ELb1EjNS0_19identity_decomposerEEEEEvT0_T1_T2_T3_T4_SL_jT5_PKSL_NS1_7vsmem_tE.kd
    .uniform_work_group_size: 1
    .uses_dynamic_stack: false
    .vgpr_count:     24
    .vgpr_spill_count: 0
    .wavefront_size: 64
  - .args:
      - .address_space:  global
        .offset:         0
        .size:           8
        .value_kind:     global_buffer
      - .address_space:  global
        .offset:         8
        .size:           8
        .value_kind:     global_buffer
      - .address_space:  global
        .offset:         16
        .size:           8
        .value_kind:     global_buffer
      - .address_space:  global
        .offset:         24
        .size:           8
        .value_kind:     global_buffer
      - .offset:         32
        .size:           4
        .value_kind:     by_value
      - .offset:         36
        .size:           4
        .value_kind:     by_value
      - .offset:         40
        .size:           4
        .value_kind:     by_value
    .group_segment_fixed_size: 0
    .kernarg_segment_align: 8
    .kernarg_segment_size: 44
    .language:       OpenCL C
    .language_version:
      - 2
      - 0
    .max_flat_workgroup_size: 128
    .name:           _ZN7rocprim17ROCPRIM_304000_NS6detail33device_block_merge_oddeven_kernelINS1_37wrapped_merge_sort_block_merge_configINS0_14default_configEjN2at4cuda3cub6detail10OpaqueTypeILi8EEEEEPjSC_PSA_SD_jNS1_19radix_merge_compareILb1ELb1EjNS0_19identity_decomposerEEEEEvT0_T1_T2_T3_T4_SL_T5_
    .private_segment_fixed_size: 0
    .sgpr_count:     28
    .sgpr_spill_count: 0
    .symbol:         _ZN7rocprim17ROCPRIM_304000_NS6detail33device_block_merge_oddeven_kernelINS1_37wrapped_merge_sort_block_merge_configINS0_14default_configEjN2at4cuda3cub6detail10OpaqueTypeILi8EEEEEPjSC_PSA_SD_jNS1_19radix_merge_compareILb1ELb1EjNS0_19identity_decomposerEEEEEvT0_T1_T2_T3_T4_SL_T5_.kd
    .uniform_work_group_size: 1
    .uses_dynamic_stack: false
    .vgpr_count:     13
    .vgpr_spill_count: 0
    .wavefront_size: 64
  - .args:
      - .address_space:  global
        .offset:         0
        .size:           8
        .value_kind:     global_buffer
      - .address_space:  global
        .offset:         8
        .size:           8
        .value_kind:     global_buffer
      - .offset:         16
        .size:           8
        .value_kind:     by_value
      - .offset:         24
        .size:           8
        .value_kind:     by_value
      - .offset:         32
        .size:           1
        .value_kind:     by_value
      - .offset:         36
        .size:           4
        .value_kind:     by_value
      - .offset:         40
        .size:           4
        .value_kind:     by_value
    .group_segment_fixed_size: 16384
    .kernarg_segment_align: 8
    .kernarg_segment_size: 44
    .language:       OpenCL C
    .language_version:
      - 2
      - 0
    .max_flat_workgroup_size: 256
    .name:           _ZN7rocprim17ROCPRIM_304000_NS6detail26onesweep_histograms_kernelINS1_34wrapped_radix_sort_onesweep_configINS0_14default_configEjN2at4cuda3cub6detail10OpaqueTypeILi8EEEEELb1EPKjmNS0_19identity_decomposerEEEvT1_PT2_SG_SG_T3_jj
    .private_segment_fixed_size: 0
    .sgpr_count:     43
    .sgpr_spill_count: 0
    .symbol:         _ZN7rocprim17ROCPRIM_304000_NS6detail26onesweep_histograms_kernelINS1_34wrapped_radix_sort_onesweep_configINS0_14default_configEjN2at4cuda3cub6detail10OpaqueTypeILi8EEEEELb1EPKjmNS0_19identity_decomposerEEEvT1_PT2_SG_SG_T3_jj.kd
    .uniform_work_group_size: 1
    .uses_dynamic_stack: false
    .vgpr_count:     23
    .vgpr_spill_count: 0
    .wavefront_size: 64
  - .args:
      - .address_space:  global
        .offset:         0
        .size:           8
        .value_kind:     global_buffer
    .group_segment_fixed_size: 32
    .kernarg_segment_align: 8
    .kernarg_segment_size: 8
    .language:       OpenCL C
    .language_version:
      - 2
      - 0
    .max_flat_workgroup_size: 256
    .name:           _ZN7rocprim17ROCPRIM_304000_NS6detail31onesweep_scan_histograms_kernelINS1_34wrapped_radix_sort_onesweep_configINS0_14default_configEjN2at4cuda3cub6detail10OpaqueTypeILi8EEEEEmEEvPT0_
    .private_segment_fixed_size: 0
    .sgpr_count:     12
    .sgpr_spill_count: 0
    .symbol:         _ZN7rocprim17ROCPRIM_304000_NS6detail31onesweep_scan_histograms_kernelINS1_34wrapped_radix_sort_onesweep_configINS0_14default_configEjN2at4cuda3cub6detail10OpaqueTypeILi8EEEEEmEEvPT0_.kd
    .uniform_work_group_size: 1
    .uses_dynamic_stack: false
    .vgpr_count:     12
    .vgpr_spill_count: 0
    .wavefront_size: 64
  - .args:
      - .address_space:  global
        .offset:         0
        .size:           8
        .value_kind:     global_buffer
      - .offset:         8
        .size:           8
        .value_kind:     by_value
      - .address_space:  global
        .offset:         16
        .size:           8
        .value_kind:     global_buffer
      - .offset:         24
        .size:           1
        .value_kind:     by_value
      - .offset:         32
        .size:           4
        .value_kind:     hidden_block_count_x
      - .offset:         36
        .size:           4
        .value_kind:     hidden_block_count_y
      - .offset:         40
        .size:           4
        .value_kind:     hidden_block_count_z
      - .offset:         44
        .size:           2
        .value_kind:     hidden_group_size_x
      - .offset:         46
        .size:           2
        .value_kind:     hidden_group_size_y
      - .offset:         48
        .size:           2
        .value_kind:     hidden_group_size_z
      - .offset:         50
        .size:           2
        .value_kind:     hidden_remainder_x
      - .offset:         52
        .size:           2
        .value_kind:     hidden_remainder_y
      - .offset:         54
        .size:           2
        .value_kind:     hidden_remainder_z
      - .offset:         72
        .size:           8
        .value_kind:     hidden_global_offset_x
      - .offset:         80
        .size:           8
        .value_kind:     hidden_global_offset_y
      - .offset:         88
        .size:           8
        .value_kind:     hidden_global_offset_z
      - .offset:         96
        .size:           2
        .value_kind:     hidden_grid_dims
    .group_segment_fixed_size: 0
    .kernarg_segment_align: 8
    .kernarg_segment_size: 288
    .language:       OpenCL C
    .language_version:
      - 2
      - 0
    .max_flat_workgroup_size: 1024
    .name:           _ZN7rocprim17ROCPRIM_304000_NS6detail16transform_kernelINS1_24wrapped_transform_configINS0_14default_configEjEEjPKjPjNS0_8identityIjEEEEvT1_mT2_T3_
    .private_segment_fixed_size: 0
    .sgpr_count:     16
    .sgpr_spill_count: 0
    .symbol:         _ZN7rocprim17ROCPRIM_304000_NS6detail16transform_kernelINS1_24wrapped_transform_configINS0_14default_configEjEEjPKjPjNS0_8identityIjEEEEvT1_mT2_T3_.kd
    .uniform_work_group_size: 1
    .uses_dynamic_stack: false
    .vgpr_count:     8
    .vgpr_spill_count: 0
    .wavefront_size: 64
  - .args:
      - .address_space:  global
        .offset:         0
        .size:           8
        .value_kind:     global_buffer
      - .offset:         8
        .size:           8
        .value_kind:     by_value
      - .address_space:  global
        .offset:         16
        .size:           8
        .value_kind:     global_buffer
      - .offset:         24
        .size:           1
        .value_kind:     by_value
      - .offset:         32
        .size:           4
        .value_kind:     hidden_block_count_x
      - .offset:         36
        .size:           4
        .value_kind:     hidden_block_count_y
      - .offset:         40
        .size:           4
        .value_kind:     hidden_block_count_z
      - .offset:         44
        .size:           2
        .value_kind:     hidden_group_size_x
      - .offset:         46
        .size:           2
        .value_kind:     hidden_group_size_y
      - .offset:         48
        .size:           2
        .value_kind:     hidden_group_size_z
      - .offset:         50
        .size:           2
        .value_kind:     hidden_remainder_x
      - .offset:         52
        .size:           2
        .value_kind:     hidden_remainder_y
      - .offset:         54
        .size:           2
        .value_kind:     hidden_remainder_z
      - .offset:         72
        .size:           8
        .value_kind:     hidden_global_offset_x
      - .offset:         80
        .size:           8
        .value_kind:     hidden_global_offset_y
      - .offset:         88
        .size:           8
        .value_kind:     hidden_global_offset_z
      - .offset:         96
        .size:           2
        .value_kind:     hidden_grid_dims
    .group_segment_fixed_size: 0
    .kernarg_segment_align: 8
    .kernarg_segment_size: 288
    .language:       OpenCL C
    .language_version:
      - 2
      - 0
    .max_flat_workgroup_size: 512
    .name:           _ZN7rocprim17ROCPRIM_304000_NS6detail16transform_kernelINS1_24wrapped_transform_configINS0_14default_configEN2at4cuda3cub6detail10OpaqueTypeILi8EEEEESA_PKSA_PSA_NS0_8identityISA_EEEEvT1_mT2_T3_
    .private_segment_fixed_size: 0
    .sgpr_count:     14
    .sgpr_spill_count: 0
    .symbol:         _ZN7rocprim17ROCPRIM_304000_NS6detail16transform_kernelINS1_24wrapped_transform_configINS0_14default_configEN2at4cuda3cub6detail10OpaqueTypeILi8EEEEESA_PKSA_PSA_NS0_8identityISA_EEEEvT1_mT2_T3_.kd
    .uniform_work_group_size: 1
    .uses_dynamic_stack: false
    .vgpr_count:     3
    .vgpr_spill_count: 0
    .wavefront_size: 64
  - .args:
      - .address_space:  global
        .offset:         0
        .size:           8
        .value_kind:     global_buffer
      - .address_space:  global
        .offset:         8
        .size:           8
        .value_kind:     global_buffer
      - .address_space:  global
        .offset:         16
        .size:           8
        .value_kind:     global_buffer
      - .address_space:  global
        .offset:         24
        .size:           8
        .value_kind:     global_buffer
      - .offset:         32
        .size:           4
        .value_kind:     by_value
      - .address_space:  global
        .offset:         40
        .size:           8
        .value_kind:     global_buffer
      - .address_space:  global
        .offset:         48
        .size:           8
        .value_kind:     global_buffer
      - .address_space:  global
        .offset:         56
        .size:           8
        .value_kind:     global_buffer
      - .offset:         64
        .size:           1
        .value_kind:     by_value
      - .offset:         68
        .size:           4
        .value_kind:     by_value
      - .offset:         72
        .size:           4
        .value_kind:     by_value
      - .offset:         76
        .size:           4
        .value_kind:     by_value
      - .offset:         80
        .size:           4
        .value_kind:     hidden_block_count_x
      - .offset:         84
        .size:           4
        .value_kind:     hidden_block_count_y
      - .offset:         88
        .size:           4
        .value_kind:     hidden_block_count_z
      - .offset:         92
        .size:           2
        .value_kind:     hidden_group_size_x
      - .offset:         94
        .size:           2
        .value_kind:     hidden_group_size_y
      - .offset:         96
        .size:           2
        .value_kind:     hidden_group_size_z
      - .offset:         98
        .size:           2
        .value_kind:     hidden_remainder_x
      - .offset:         100
        .size:           2
        .value_kind:     hidden_remainder_y
      - .offset:         102
        .size:           2
        .value_kind:     hidden_remainder_z
      - .offset:         120
        .size:           8
        .value_kind:     hidden_global_offset_x
      - .offset:         128
        .size:           8
        .value_kind:     hidden_global_offset_y
      - .offset:         136
        .size:           8
        .value_kind:     hidden_global_offset_z
      - .offset:         144
        .size:           2
        .value_kind:     hidden_grid_dims
    .group_segment_fixed_size: 26624
    .kernarg_segment_align: 8
    .kernarg_segment_size: 336
    .language:       OpenCL C
    .language_version:
      - 2
      - 0
    .max_flat_workgroup_size: 256
    .name:           _ZN7rocprim17ROCPRIM_304000_NS6detail25onesweep_iteration_kernelINS1_34wrapped_radix_sort_onesweep_configINS0_14default_configEjN2at4cuda3cub6detail10OpaqueTypeILi8EEEEELb1EPKjPjPKSA_PSA_mNS0_19identity_decomposerEEEvT1_T2_T3_T4_jPT5_SO_PNS1_23onesweep_lookback_stateET6_jjj
    .private_segment_fixed_size: 0
    .sgpr_count:     79
    .sgpr_spill_count: 0
    .symbol:         _ZN7rocprim17ROCPRIM_304000_NS6detail25onesweep_iteration_kernelINS1_34wrapped_radix_sort_onesweep_configINS0_14default_configEjN2at4cuda3cub6detail10OpaqueTypeILi8EEEEELb1EPKjPjPKSA_PSA_mNS0_19identity_decomposerEEEvT1_T2_T3_T4_jPT5_SO_PNS1_23onesweep_lookback_stateET6_jjj.kd
    .uniform_work_group_size: 1
    .uses_dynamic_stack: false
    .vgpr_count:     71
    .vgpr_spill_count: 0
    .wavefront_size: 64
  - .args:
      - .address_space:  global
        .offset:         0
        .size:           8
        .value_kind:     global_buffer
      - .address_space:  global
        .offset:         8
        .size:           8
        .value_kind:     global_buffer
      - .address_space:  global
        .offset:         16
        .size:           8
        .value_kind:     global_buffer
      - .address_space:  global
        .offset:         24
        .size:           8
        .value_kind:     global_buffer
      - .offset:         32
        .size:           4
        .value_kind:     by_value
      - .address_space:  global
        .offset:         40
        .size:           8
        .value_kind:     global_buffer
      - .address_space:  global
        .offset:         48
        .size:           8
        .value_kind:     global_buffer
      - .address_space:  global
        .offset:         56
        .size:           8
        .value_kind:     global_buffer
      - .offset:         64
        .size:           1
        .value_kind:     by_value
      - .offset:         68
        .size:           4
        .value_kind:     by_value
      - .offset:         72
        .size:           4
        .value_kind:     by_value
      - .offset:         76
        .size:           4
        .value_kind:     by_value
      - .offset:         80
        .size:           4
        .value_kind:     hidden_block_count_x
      - .offset:         84
        .size:           4
        .value_kind:     hidden_block_count_y
      - .offset:         88
        .size:           4
        .value_kind:     hidden_block_count_z
      - .offset:         92
        .size:           2
        .value_kind:     hidden_group_size_x
      - .offset:         94
        .size:           2
        .value_kind:     hidden_group_size_y
      - .offset:         96
        .size:           2
        .value_kind:     hidden_group_size_z
      - .offset:         98
        .size:           2
        .value_kind:     hidden_remainder_x
      - .offset:         100
        .size:           2
        .value_kind:     hidden_remainder_y
      - .offset:         102
        .size:           2
        .value_kind:     hidden_remainder_z
      - .offset:         120
        .size:           8
        .value_kind:     hidden_global_offset_x
      - .offset:         128
        .size:           8
        .value_kind:     hidden_global_offset_y
      - .offset:         136
        .size:           8
        .value_kind:     hidden_global_offset_z
      - .offset:         144
        .size:           2
        .value_kind:     hidden_grid_dims
    .group_segment_fixed_size: 26624
    .kernarg_segment_align: 8
    .kernarg_segment_size: 336
    .language:       OpenCL C
    .language_version:
      - 2
      - 0
    .max_flat_workgroup_size: 256
    .name:           _ZN7rocprim17ROCPRIM_304000_NS6detail25onesweep_iteration_kernelINS1_34wrapped_radix_sort_onesweep_configINS0_14default_configEjN2at4cuda3cub6detail10OpaqueTypeILi8EEEEELb1EPjSC_PSA_SD_mNS0_19identity_decomposerEEEvT1_T2_T3_T4_jPT5_SK_PNS1_23onesweep_lookback_stateET6_jjj
    .private_segment_fixed_size: 0
    .sgpr_count:     79
    .sgpr_spill_count: 0
    .symbol:         _ZN7rocprim17ROCPRIM_304000_NS6detail25onesweep_iteration_kernelINS1_34wrapped_radix_sort_onesweep_configINS0_14default_configEjN2at4cuda3cub6detail10OpaqueTypeILi8EEEEELb1EPjSC_PSA_SD_mNS0_19identity_decomposerEEEvT1_T2_T3_T4_jPT5_SK_PNS1_23onesweep_lookback_stateET6_jjj.kd
    .uniform_work_group_size: 1
    .uses_dynamic_stack: false
    .vgpr_count:     71
    .vgpr_spill_count: 0
    .wavefront_size: 64
  - .args:
      - .address_space:  global
        .offset:         0
        .size:           8
        .value_kind:     global_buffer
      - .address_space:  global
        .offset:         8
        .size:           8
        .value_kind:     global_buffer
      - .address_space:  global
        .offset:         16
        .size:           8
        .value_kind:     global_buffer
      - .address_space:  global
        .offset:         24
        .size:           8
        .value_kind:     global_buffer
      - .offset:         32
        .size:           4
        .value_kind:     by_value
      - .offset:         36
        .size:           1
        .value_kind:     by_value
      - .offset:         40
        .size:           4
        .value_kind:     by_value
      - .offset:         44
        .size:           4
        .value_kind:     by_value
      - .offset:         48
        .size:           4
        .value_kind:     hidden_block_count_x
      - .offset:         52
        .size:           4
        .value_kind:     hidden_block_count_y
      - .offset:         56
        .size:           4
        .value_kind:     hidden_block_count_z
      - .offset:         60
        .size:           2
        .value_kind:     hidden_group_size_x
      - .offset:         62
        .size:           2
        .value_kind:     hidden_group_size_y
      - .offset:         64
        .size:           2
        .value_kind:     hidden_group_size_z
      - .offset:         66
        .size:           2
        .value_kind:     hidden_remainder_x
      - .offset:         68
        .size:           2
        .value_kind:     hidden_remainder_y
      - .offset:         70
        .size:           2
        .value_kind:     hidden_remainder_z
      - .offset:         88
        .size:           8
        .value_kind:     hidden_global_offset_x
      - .offset:         96
        .size:           8
        .value_kind:     hidden_global_offset_y
      - .offset:         104
        .size:           8
        .value_kind:     hidden_global_offset_z
      - .offset:         112
        .size:           2
        .value_kind:     hidden_grid_dims
    .group_segment_fixed_size: 8192
    .kernarg_segment_align: 8
    .kernarg_segment_size: 304
    .language:       OpenCL C
    .language_version:
      - 2
      - 0
    .max_flat_workgroup_size: 256
    .name:           _ZN7rocprim17ROCPRIM_304000_NS6detail28radix_sort_block_sort_kernelINS1_36wrapped_radix_sort_block_sort_configINS0_13kernel_configILj256ELj4ELj4294967295EEEjN2at4cuda3cub6detail10OpaqueTypeILi8EEEEELb0EPKjPjPKSB_PSB_NS0_19identity_decomposerEEEvT1_T2_T3_T4_jT5_jj
    .private_segment_fixed_size: 0
    .sgpr_count:     50
    .sgpr_spill_count: 0
    .symbol:         _ZN7rocprim17ROCPRIM_304000_NS6detail28radix_sort_block_sort_kernelINS1_36wrapped_radix_sort_block_sort_configINS0_13kernel_configILj256ELj4ELj4294967295EEEjN2at4cuda3cub6detail10OpaqueTypeILi8EEEEELb0EPKjPjPKSB_PSB_NS0_19identity_decomposerEEEvT1_T2_T3_T4_jT5_jj.kd
    .uniform_work_group_size: 1
    .uses_dynamic_stack: false
    .vgpr_count:     53
    .vgpr_spill_count: 0
    .wavefront_size: 64
  - .args:
      - .address_space:  global
        .offset:         0
        .size:           8
        .value_kind:     global_buffer
      - .offset:         8
        .size:           4
        .value_kind:     by_value
      - .offset:         12
        .size:           4
        .value_kind:     by_value
      - .address_space:  global
        .offset:         16
        .size:           8
        .value_kind:     global_buffer
      - .offset:         24
        .size:           1
        .value_kind:     by_value
      - .offset:         28
        .size:           4
        .value_kind:     by_value
    .group_segment_fixed_size: 0
    .kernarg_segment_align: 8
    .kernarg_segment_size: 32
    .language:       OpenCL C
    .language_version:
      - 2
      - 0
    .max_flat_workgroup_size: 128
    .name:           _ZN7rocprim17ROCPRIM_304000_NS6detail45device_block_merge_mergepath_partition_kernelINS1_37wrapped_merge_sort_block_merge_configINS0_14default_configEjN2at4cuda3cub6detail10OpaqueTypeILi8EEEEEPjjNS1_19radix_merge_compareILb0ELb0EjNS0_19identity_decomposerEEEEEvT0_T1_jPSH_T2_SH_
    .private_segment_fixed_size: 0
    .sgpr_count:     11
    .sgpr_spill_count: 0
    .symbol:         _ZN7rocprim17ROCPRIM_304000_NS6detail45device_block_merge_mergepath_partition_kernelINS1_37wrapped_merge_sort_block_merge_configINS0_14default_configEjN2at4cuda3cub6detail10OpaqueTypeILi8EEEEEPjjNS1_19radix_merge_compareILb0ELb0EjNS0_19identity_decomposerEEEEEvT0_T1_jPSH_T2_SH_.kd
    .uniform_work_group_size: 1
    .uses_dynamic_stack: false
    .vgpr_count:     17
    .vgpr_spill_count: 0
    .wavefront_size: 64
  - .args:
      - .address_space:  global
        .offset:         0
        .size:           8
        .value_kind:     global_buffer
      - .address_space:  global
        .offset:         8
        .size:           8
        .value_kind:     global_buffer
      - .address_space:  global
        .offset:         16
        .size:           8
        .value_kind:     global_buffer
      - .address_space:  global
        .offset:         24
        .size:           8
        .value_kind:     global_buffer
      - .offset:         32
        .size:           4
        .value_kind:     by_value
      - .offset:         36
        .size:           4
        .value_kind:     by_value
      - .offset:         40
        .size:           4
        .value_kind:     by_value
      - .offset:         44
        .size:           1
        .value_kind:     by_value
      - .address_space:  global
        .offset:         48
        .size:           8
        .value_kind:     global_buffer
      - .address_space:  global
        .offset:         56
        .size:           8
        .value_kind:     global_buffer
      - .offset:         64
        .size:           4
        .value_kind:     hidden_block_count_x
      - .offset:         68
        .size:           4
        .value_kind:     hidden_block_count_y
      - .offset:         72
        .size:           4
        .value_kind:     hidden_block_count_z
      - .offset:         76
        .size:           2
        .value_kind:     hidden_group_size_x
      - .offset:         78
        .size:           2
        .value_kind:     hidden_group_size_y
      - .offset:         80
        .size:           2
        .value_kind:     hidden_group_size_z
      - .offset:         82
        .size:           2
        .value_kind:     hidden_remainder_x
      - .offset:         84
        .size:           2
        .value_kind:     hidden_remainder_y
      - .offset:         86
        .size:           2
        .value_kind:     hidden_remainder_z
      - .offset:         104
        .size:           8
        .value_kind:     hidden_global_offset_x
      - .offset:         112
        .size:           8
        .value_kind:     hidden_global_offset_y
      - .offset:         120
        .size:           8
        .value_kind:     hidden_global_offset_z
      - .offset:         128
        .size:           2
        .value_kind:     hidden_grid_dims
    .group_segment_fixed_size: 4112
    .kernarg_segment_align: 8
    .kernarg_segment_size: 320
    .language:       OpenCL C
    .language_version:
      - 2
      - 0
    .max_flat_workgroup_size: 128
    .name:           _ZN7rocprim17ROCPRIM_304000_NS6detail35device_block_merge_mergepath_kernelINS1_37wrapped_merge_sort_block_merge_configINS0_14default_configEjN2at4cuda3cub6detail10OpaqueTypeILi8EEEEEPjSC_PSA_SD_jNS1_19radix_merge_compareILb0ELb0EjNS0_19identity_decomposerEEEEEvT0_T1_T2_T3_T4_SL_jT5_PKSL_NS1_7vsmem_tE
    .private_segment_fixed_size: 0
    .sgpr_count:     36
    .sgpr_spill_count: 0
    .symbol:         _ZN7rocprim17ROCPRIM_304000_NS6detail35device_block_merge_mergepath_kernelINS1_37wrapped_merge_sort_block_merge_configINS0_14default_configEjN2at4cuda3cub6detail10OpaqueTypeILi8EEEEEPjSC_PSA_SD_jNS1_19radix_merge_compareILb0ELb0EjNS0_19identity_decomposerEEEEEvT0_T1_T2_T3_T4_SL_jT5_PKSL_NS1_7vsmem_tE.kd
    .uniform_work_group_size: 1
    .uses_dynamic_stack: false
    .vgpr_count:     24
    .vgpr_spill_count: 0
    .wavefront_size: 64
  - .args:
      - .address_space:  global
        .offset:         0
        .size:           8
        .value_kind:     global_buffer
      - .address_space:  global
        .offset:         8
        .size:           8
        .value_kind:     global_buffer
      - .address_space:  global
        .offset:         16
        .size:           8
        .value_kind:     global_buffer
      - .address_space:  global
        .offset:         24
        .size:           8
        .value_kind:     global_buffer
      - .offset:         32
        .size:           4
        .value_kind:     by_value
      - .offset:         36
        .size:           4
        .value_kind:     by_value
      - .offset:         40
        .size:           1
        .value_kind:     by_value
    .group_segment_fixed_size: 0
    .kernarg_segment_align: 8
    .kernarg_segment_size: 44
    .language:       OpenCL C
    .language_version:
      - 2
      - 0
    .max_flat_workgroup_size: 128
    .name:           _ZN7rocprim17ROCPRIM_304000_NS6detail33device_block_merge_oddeven_kernelINS1_37wrapped_merge_sort_block_merge_configINS0_14default_configEjN2at4cuda3cub6detail10OpaqueTypeILi8EEEEEPjSC_PSA_SD_jNS1_19radix_merge_compareILb0ELb0EjNS0_19identity_decomposerEEEEEvT0_T1_T2_T3_T4_SL_T5_
    .private_segment_fixed_size: 0
    .sgpr_count:     26
    .sgpr_spill_count: 0
    .symbol:         _ZN7rocprim17ROCPRIM_304000_NS6detail33device_block_merge_oddeven_kernelINS1_37wrapped_merge_sort_block_merge_configINS0_14default_configEjN2at4cuda3cub6detail10OpaqueTypeILi8EEEEEPjSC_PSA_SD_jNS1_19radix_merge_compareILb0ELb0EjNS0_19identity_decomposerEEEEEvT0_T1_T2_T3_T4_SL_T5_.kd
    .uniform_work_group_size: 1
    .uses_dynamic_stack: false
    .vgpr_count:     12
    .vgpr_spill_count: 0
    .wavefront_size: 64
  - .args:
      - .address_space:  global
        .offset:         0
        .size:           8
        .value_kind:     global_buffer
      - .offset:         8
        .size:           4
        .value_kind:     by_value
      - .offset:         12
        .size:           4
        .value_kind:     by_value
      - .address_space:  global
        .offset:         16
        .size:           8
        .value_kind:     global_buffer
      - .offset:         24
        .size:           4
        .value_kind:     by_value
      - .offset:         28
        .size:           4
        .value_kind:     by_value
    .group_segment_fixed_size: 0
    .kernarg_segment_align: 8
    .kernarg_segment_size: 32
    .language:       OpenCL C
    .language_version:
      - 2
      - 0
    .max_flat_workgroup_size: 128
    .name:           _ZN7rocprim17ROCPRIM_304000_NS6detail45device_block_merge_mergepath_partition_kernelINS1_37wrapped_merge_sort_block_merge_configINS0_14default_configEjN2at4cuda3cub6detail10OpaqueTypeILi8EEEEEPjjNS1_19radix_merge_compareILb0ELb1EjNS0_19identity_decomposerEEEEEvT0_T1_jPSH_T2_SH_
    .private_segment_fixed_size: 0
    .sgpr_count:     12
    .sgpr_spill_count: 0
    .symbol:         _ZN7rocprim17ROCPRIM_304000_NS6detail45device_block_merge_mergepath_partition_kernelINS1_37wrapped_merge_sort_block_merge_configINS0_14default_configEjN2at4cuda3cub6detail10OpaqueTypeILi8EEEEEPjjNS1_19radix_merge_compareILb0ELb1EjNS0_19identity_decomposerEEEEEvT0_T1_jPSH_T2_SH_.kd
    .uniform_work_group_size: 1
    .uses_dynamic_stack: false
    .vgpr_count:     17
    .vgpr_spill_count: 0
    .wavefront_size: 64
  - .args:
      - .address_space:  global
        .offset:         0
        .size:           8
        .value_kind:     global_buffer
      - .address_space:  global
        .offset:         8
        .size:           8
        .value_kind:     global_buffer
      - .address_space:  global
        .offset:         16
        .size:           8
        .value_kind:     global_buffer
      - .address_space:  global
        .offset:         24
        .size:           8
        .value_kind:     global_buffer
      - .offset:         32
        .size:           4
        .value_kind:     by_value
      - .offset:         36
        .size:           4
        .value_kind:     by_value
      - .offset:         40
        .size:           4
        .value_kind:     by_value
      - .offset:         44
        .size:           4
        .value_kind:     by_value
      - .address_space:  global
        .offset:         48
        .size:           8
        .value_kind:     global_buffer
      - .address_space:  global
        .offset:         56
        .size:           8
        .value_kind:     global_buffer
      - .offset:         64
        .size:           4
        .value_kind:     hidden_block_count_x
      - .offset:         68
        .size:           4
        .value_kind:     hidden_block_count_y
      - .offset:         72
        .size:           4
        .value_kind:     hidden_block_count_z
      - .offset:         76
        .size:           2
        .value_kind:     hidden_group_size_x
      - .offset:         78
        .size:           2
        .value_kind:     hidden_group_size_y
      - .offset:         80
        .size:           2
        .value_kind:     hidden_group_size_z
      - .offset:         82
        .size:           2
        .value_kind:     hidden_remainder_x
      - .offset:         84
        .size:           2
        .value_kind:     hidden_remainder_y
      - .offset:         86
        .size:           2
        .value_kind:     hidden_remainder_z
      - .offset:         104
        .size:           8
        .value_kind:     hidden_global_offset_x
      - .offset:         112
        .size:           8
        .value_kind:     hidden_global_offset_y
      - .offset:         120
        .size:           8
        .value_kind:     hidden_global_offset_z
      - .offset:         128
        .size:           2
        .value_kind:     hidden_grid_dims
    .group_segment_fixed_size: 4112
    .kernarg_segment_align: 8
    .kernarg_segment_size: 320
    .language:       OpenCL C
    .language_version:
      - 2
      - 0
    .max_flat_workgroup_size: 128
    .name:           _ZN7rocprim17ROCPRIM_304000_NS6detail35device_block_merge_mergepath_kernelINS1_37wrapped_merge_sort_block_merge_configINS0_14default_configEjN2at4cuda3cub6detail10OpaqueTypeILi8EEEEEPjSC_PSA_SD_jNS1_19radix_merge_compareILb0ELb1EjNS0_19identity_decomposerEEEEEvT0_T1_T2_T3_T4_SL_jT5_PKSL_NS1_7vsmem_tE
    .private_segment_fixed_size: 0
    .sgpr_count:     36
    .sgpr_spill_count: 0
    .symbol:         _ZN7rocprim17ROCPRIM_304000_NS6detail35device_block_merge_mergepath_kernelINS1_37wrapped_merge_sort_block_merge_configINS0_14default_configEjN2at4cuda3cub6detail10OpaqueTypeILi8EEEEEPjSC_PSA_SD_jNS1_19radix_merge_compareILb0ELb1EjNS0_19identity_decomposerEEEEEvT0_T1_T2_T3_T4_SL_jT5_PKSL_NS1_7vsmem_tE.kd
    .uniform_work_group_size: 1
    .uses_dynamic_stack: false
    .vgpr_count:     24
    .vgpr_spill_count: 0
    .wavefront_size: 64
  - .args:
      - .address_space:  global
        .offset:         0
        .size:           8
        .value_kind:     global_buffer
      - .address_space:  global
        .offset:         8
        .size:           8
        .value_kind:     global_buffer
      - .address_space:  global
        .offset:         16
        .size:           8
        .value_kind:     global_buffer
      - .address_space:  global
        .offset:         24
        .size:           8
        .value_kind:     global_buffer
      - .offset:         32
        .size:           4
        .value_kind:     by_value
      - .offset:         36
        .size:           4
        .value_kind:     by_value
      - .offset:         40
        .size:           4
        .value_kind:     by_value
    .group_segment_fixed_size: 0
    .kernarg_segment_align: 8
    .kernarg_segment_size: 44
    .language:       OpenCL C
    .language_version:
      - 2
      - 0
    .max_flat_workgroup_size: 128
    .name:           _ZN7rocprim17ROCPRIM_304000_NS6detail33device_block_merge_oddeven_kernelINS1_37wrapped_merge_sort_block_merge_configINS0_14default_configEjN2at4cuda3cub6detail10OpaqueTypeILi8EEEEEPjSC_PSA_SD_jNS1_19radix_merge_compareILb0ELb1EjNS0_19identity_decomposerEEEEEvT0_T1_T2_T3_T4_SL_T5_
    .private_segment_fixed_size: 0
    .sgpr_count:     28
    .sgpr_spill_count: 0
    .symbol:         _ZN7rocprim17ROCPRIM_304000_NS6detail33device_block_merge_oddeven_kernelINS1_37wrapped_merge_sort_block_merge_configINS0_14default_configEjN2at4cuda3cub6detail10OpaqueTypeILi8EEEEEPjSC_PSA_SD_jNS1_19radix_merge_compareILb0ELb1EjNS0_19identity_decomposerEEEEEvT0_T1_T2_T3_T4_SL_T5_.kd
    .uniform_work_group_size: 1
    .uses_dynamic_stack: false
    .vgpr_count:     13
    .vgpr_spill_count: 0
    .wavefront_size: 64
  - .args:
      - .address_space:  global
        .offset:         0
        .size:           8
        .value_kind:     global_buffer
      - .address_space:  global
        .offset:         8
        .size:           8
        .value_kind:     global_buffer
      - .offset:         16
        .size:           8
        .value_kind:     by_value
      - .offset:         24
        .size:           8
        .value_kind:     by_value
      - .offset:         32
        .size:           1
        .value_kind:     by_value
      - .offset:         36
        .size:           4
        .value_kind:     by_value
      - .offset:         40
        .size:           4
        .value_kind:     by_value
    .group_segment_fixed_size: 16384
    .kernarg_segment_align: 8
    .kernarg_segment_size: 44
    .language:       OpenCL C
    .language_version:
      - 2
      - 0
    .max_flat_workgroup_size: 256
    .name:           _ZN7rocprim17ROCPRIM_304000_NS6detail26onesweep_histograms_kernelINS1_34wrapped_radix_sort_onesweep_configINS0_14default_configEjN2at4cuda3cub6detail10OpaqueTypeILi8EEEEELb0EPKjmNS0_19identity_decomposerEEEvT1_PT2_SG_SG_T3_jj
    .private_segment_fixed_size: 0
    .sgpr_count:     43
    .sgpr_spill_count: 0
    .symbol:         _ZN7rocprim17ROCPRIM_304000_NS6detail26onesweep_histograms_kernelINS1_34wrapped_radix_sort_onesweep_configINS0_14default_configEjN2at4cuda3cub6detail10OpaqueTypeILi8EEEEELb0EPKjmNS0_19identity_decomposerEEEvT1_PT2_SG_SG_T3_jj.kd
    .uniform_work_group_size: 1
    .uses_dynamic_stack: false
    .vgpr_count:     23
    .vgpr_spill_count: 0
    .wavefront_size: 64
  - .args:
      - .address_space:  global
        .offset:         0
        .size:           8
        .value_kind:     global_buffer
      - .address_space:  global
        .offset:         8
        .size:           8
        .value_kind:     global_buffer
      - .address_space:  global
        .offset:         16
        .size:           8
        .value_kind:     global_buffer
      - .address_space:  global
        .offset:         24
        .size:           8
        .value_kind:     global_buffer
      - .offset:         32
        .size:           4
        .value_kind:     by_value
      - .address_space:  global
        .offset:         40
        .size:           8
        .value_kind:     global_buffer
      - .address_space:  global
        .offset:         48
        .size:           8
        .value_kind:     global_buffer
      - .address_space:  global
        .offset:         56
        .size:           8
        .value_kind:     global_buffer
      - .offset:         64
        .size:           1
        .value_kind:     by_value
      - .offset:         68
        .size:           4
        .value_kind:     by_value
      - .offset:         72
        .size:           4
        .value_kind:     by_value
      - .offset:         76
        .size:           4
        .value_kind:     by_value
      - .offset:         80
        .size:           4
        .value_kind:     hidden_block_count_x
      - .offset:         84
        .size:           4
        .value_kind:     hidden_block_count_y
      - .offset:         88
        .size:           4
        .value_kind:     hidden_block_count_z
      - .offset:         92
        .size:           2
        .value_kind:     hidden_group_size_x
      - .offset:         94
        .size:           2
        .value_kind:     hidden_group_size_y
      - .offset:         96
        .size:           2
        .value_kind:     hidden_group_size_z
      - .offset:         98
        .size:           2
        .value_kind:     hidden_remainder_x
      - .offset:         100
        .size:           2
        .value_kind:     hidden_remainder_y
      - .offset:         102
        .size:           2
        .value_kind:     hidden_remainder_z
      - .offset:         120
        .size:           8
        .value_kind:     hidden_global_offset_x
      - .offset:         128
        .size:           8
        .value_kind:     hidden_global_offset_y
      - .offset:         136
        .size:           8
        .value_kind:     hidden_global_offset_z
      - .offset:         144
        .size:           2
        .value_kind:     hidden_grid_dims
    .group_segment_fixed_size: 26624
    .kernarg_segment_align: 8
    .kernarg_segment_size: 336
    .language:       OpenCL C
    .language_version:
      - 2
      - 0
    .max_flat_workgroup_size: 256
    .name:           _ZN7rocprim17ROCPRIM_304000_NS6detail25onesweep_iteration_kernelINS1_34wrapped_radix_sort_onesweep_configINS0_14default_configEjN2at4cuda3cub6detail10OpaqueTypeILi8EEEEELb0EPKjPjPKSA_PSA_mNS0_19identity_decomposerEEEvT1_T2_T3_T4_jPT5_SO_PNS1_23onesweep_lookback_stateET6_jjj
    .private_segment_fixed_size: 0
    .sgpr_count:     79
    .sgpr_spill_count: 0
    .symbol:         _ZN7rocprim17ROCPRIM_304000_NS6detail25onesweep_iteration_kernelINS1_34wrapped_radix_sort_onesweep_configINS0_14default_configEjN2at4cuda3cub6detail10OpaqueTypeILi8EEEEELb0EPKjPjPKSA_PSA_mNS0_19identity_decomposerEEEvT1_T2_T3_T4_jPT5_SO_PNS1_23onesweep_lookback_stateET6_jjj.kd
    .uniform_work_group_size: 1
    .uses_dynamic_stack: false
    .vgpr_count:     71
    .vgpr_spill_count: 0
    .wavefront_size: 64
  - .args:
      - .address_space:  global
        .offset:         0
        .size:           8
        .value_kind:     global_buffer
      - .address_space:  global
        .offset:         8
        .size:           8
        .value_kind:     global_buffer
      - .address_space:  global
        .offset:         16
        .size:           8
        .value_kind:     global_buffer
      - .address_space:  global
        .offset:         24
        .size:           8
        .value_kind:     global_buffer
      - .offset:         32
        .size:           4
        .value_kind:     by_value
      - .address_space:  global
        .offset:         40
        .size:           8
        .value_kind:     global_buffer
      - .address_space:  global
        .offset:         48
        .size:           8
        .value_kind:     global_buffer
      - .address_space:  global
        .offset:         56
        .size:           8
        .value_kind:     global_buffer
      - .offset:         64
        .size:           1
        .value_kind:     by_value
      - .offset:         68
        .size:           4
        .value_kind:     by_value
      - .offset:         72
        .size:           4
        .value_kind:     by_value
      - .offset:         76
        .size:           4
        .value_kind:     by_value
      - .offset:         80
        .size:           4
        .value_kind:     hidden_block_count_x
      - .offset:         84
        .size:           4
        .value_kind:     hidden_block_count_y
      - .offset:         88
        .size:           4
        .value_kind:     hidden_block_count_z
      - .offset:         92
        .size:           2
        .value_kind:     hidden_group_size_x
      - .offset:         94
        .size:           2
        .value_kind:     hidden_group_size_y
      - .offset:         96
        .size:           2
        .value_kind:     hidden_group_size_z
      - .offset:         98
        .size:           2
        .value_kind:     hidden_remainder_x
      - .offset:         100
        .size:           2
        .value_kind:     hidden_remainder_y
      - .offset:         102
        .size:           2
        .value_kind:     hidden_remainder_z
      - .offset:         120
        .size:           8
        .value_kind:     hidden_global_offset_x
      - .offset:         128
        .size:           8
        .value_kind:     hidden_global_offset_y
      - .offset:         136
        .size:           8
        .value_kind:     hidden_global_offset_z
      - .offset:         144
        .size:           2
        .value_kind:     hidden_grid_dims
    .group_segment_fixed_size: 26624
    .kernarg_segment_align: 8
    .kernarg_segment_size: 336
    .language:       OpenCL C
    .language_version:
      - 2
      - 0
    .max_flat_workgroup_size: 256
    .name:           _ZN7rocprim17ROCPRIM_304000_NS6detail25onesweep_iteration_kernelINS1_34wrapped_radix_sort_onesweep_configINS0_14default_configEjN2at4cuda3cub6detail10OpaqueTypeILi8EEEEELb0EPjSC_PSA_SD_mNS0_19identity_decomposerEEEvT1_T2_T3_T4_jPT5_SK_PNS1_23onesweep_lookback_stateET6_jjj
    .private_segment_fixed_size: 0
    .sgpr_count:     79
    .sgpr_spill_count: 0
    .symbol:         _ZN7rocprim17ROCPRIM_304000_NS6detail25onesweep_iteration_kernelINS1_34wrapped_radix_sort_onesweep_configINS0_14default_configEjN2at4cuda3cub6detail10OpaqueTypeILi8EEEEELb0EPjSC_PSA_SD_mNS0_19identity_decomposerEEEvT1_T2_T3_T4_jPT5_SK_PNS1_23onesweep_lookback_stateET6_jjj.kd
    .uniform_work_group_size: 1
    .uses_dynamic_stack: false
    .vgpr_count:     71
    .vgpr_spill_count: 0
    .wavefront_size: 64
amdhsa.target:   amdgcn-amd-amdhsa--gfx906
amdhsa.version:
  - 1
  - 2
...

	.end_amdgpu_metadata
